;; amdgpu-corpus repo=ROCm/rocFFT kind=compiled arch=gfx1030 opt=O3
	.text
	.amdgcn_target "amdgcn-amd-amdhsa--gfx1030"
	.amdhsa_code_object_version 6
	.protected	bluestein_single_back_len1836_dim1_sp_op_CI_CI ; -- Begin function bluestein_single_back_len1836_dim1_sp_op_CI_CI
	.globl	bluestein_single_back_len1836_dim1_sp_op_CI_CI
	.p2align	8
	.type	bluestein_single_back_len1836_dim1_sp_op_CI_CI,@function
bluestein_single_back_len1836_dim1_sp_op_CI_CI: ; @bluestein_single_back_len1836_dim1_sp_op_CI_CI
; %bb.0:
	s_load_dwordx4 s[0:3], s[4:5], 0x28
	v_mul_u32_u24_e32 v1, 0x1ad, v0
	v_mov_b32_e32 v81, 0
	v_lshrrev_b32_e32 v1, 16, v1
	v_add_nc_u32_e32 v80, s6, v1
	s_waitcnt lgkmcnt(0)
	v_cmp_gt_u64_e32 vcc_lo, s[0:1], v[80:81]
	s_and_saveexec_b32 s0, vcc_lo
	s_cbranch_execz .LBB0_15
; %bb.1:
	s_clause 0x1
	s_load_dwordx2 s[12:13], s[4:5], 0x0
	s_load_dwordx2 s[14:15], s[4:5], 0x38
	v_mul_lo_u16 v1, 0x99, v1
	v_sub_nc_u16 v0, v0, v1
	v_and_b32_e32 v98, 0xffff, v0
	v_cmp_gt_u16_e32 vcc_lo, 0x6c, v0
	v_lshlrev_b32_e32 v97, 3, v98
	s_and_saveexec_b32 s1, vcc_lo
	s_cbranch_execz .LBB0_3
; %bb.2:
	s_load_dwordx2 s[6:7], s[4:5], 0x18
	s_waitcnt lgkmcnt(0)
	v_add_co_u32 v23, s0, s12, v97
	v_add_co_ci_u32_e64 v24, null, s13, 0, s0
	v_add_nc_u32_e32 v70, 0x400, v97
	v_add_co_u32 v6, s0, 0x800, v23
	v_add_co_ci_u32_e64 v7, s0, 0, v24, s0
	v_add_co_u32 v10, s0, 0x1000, v23
	v_add_co_ci_u32_e64 v11, s0, 0, v24, s0
	;; [unrolled: 2-line block ×3, first 2 shown]
	v_add_co_u32 v16, s0, 0x2000, v23
	s_load_dwordx4 s[8:11], s[6:7], 0x0
	v_add_co_ci_u32_e64 v17, s0, 0, v24, s0
	s_clause 0x2
	global_load_dwordx2 v[0:1], v97, s[12:13]
	global_load_dwordx2 v[2:3], v97, s[12:13] offset:864
	global_load_dwordx2 v[4:5], v97, s[12:13] offset:1728
	v_add_nc_u32_e32 v71, 0xc00, v97
	v_add_nc_u32_e32 v72, 0x1000, v97
	;; [unrolled: 1-line block ×6, first 2 shown]
	s_waitcnt lgkmcnt(0)
	v_mad_u64_u32 v[8:9], null, s10, v80, 0
	v_mad_u64_u32 v[14:15], null, s8, v98, 0
	s_mul_i32 s6, s9, 0x360
	s_mul_hi_u32 s7, s8, 0x360
	s_add_i32 s7, s7, s6
	v_mad_u64_u32 v[18:19], null, s11, v80, v[9:10]
	v_mov_b32_e32 v9, v15
	v_add_co_u32 v19, s0, 0x2800, v23
	v_add_co_ci_u32_e64 v20, s0, 0, v24, s0
	v_mad_u64_u32 v[21:22], null, s9, v98, v[9:10]
	v_mov_b32_e32 v9, v18
	v_add_co_u32 v22, s0, 0x3000, v23
	v_add_co_ci_u32_e64 v23, s0, 0, v24, s0
	v_lshlrev_b64 v[8:9], 3, v[8:9]
	v_mov_b32_e32 v15, v21
	s_clause 0x8
	global_load_dwordx2 v[24:25], v[6:7], off offset:544
	global_load_dwordx2 v[6:7], v[6:7], off offset:1408
	;; [unrolled: 1-line block ×9, first 2 shown]
	v_lshlrev_b64 v[14:15], 3, v[14:15]
	v_add_co_u32 v8, s0, s2, v8
	v_add_co_ci_u32_e64 v9, s0, s3, v9, s0
	s_mul_i32 s2, s8, 0x360
	v_add_co_u32 v8, s0, v8, v14
	v_add_co_ci_u32_e64 v9, s0, v9, v15, s0
	s_clause 0x2
	global_load_dwordx2 v[38:39], v[19:20], off offset:128
	global_load_dwordx2 v[40:41], v[19:20], off offset:992
	;; [unrolled: 1-line block ×3, first 2 shown]
	v_add_co_u32 v14, s0, v8, s2
	v_add_co_ci_u32_e64 v15, s0, s7, v9, s0
	v_add_co_u32 v32, s0, v14, s2
	v_add_co_ci_u32_e64 v33, s0, s7, v15, s0
	;; [unrolled: 2-line block ×4, first 2 shown]
	s_clause 0x3
	global_load_dwordx2 v[8:9], v[8:9], off
	global_load_dwordx2 v[14:15], v[14:15], off
	;; [unrolled: 1-line block ×4, first 2 shown]
	v_add_co_u32 v42, s0, v20, s2
	v_add_co_ci_u32_e64 v43, s0, s7, v21, s0
	global_load_dwordx2 v[20:21], v[20:21], off
	v_add_co_u32 v44, s0, v42, s2
	v_add_co_ci_u32_e64 v45, s0, s7, v43, s0
	global_load_dwordx2 v[42:43], v[42:43], off
	;; [unrolled: 3-line block ×12, first 2 shown]
	s_clause 0x1
	global_load_dwordx2 v[66:67], v[22:23], off offset:672
	global_load_dwordx2 v[22:23], v[22:23], off offset:1536
	global_load_dwordx2 v[64:65], v[64:65], off
	s_waitcnt vmcnt(18)
	v_mul_f32_e32 v68, v9, v1
	v_mul_f32_e32 v69, v8, v1
	s_waitcnt vmcnt(17)
	v_mul_f32_e32 v1, v15, v3
	v_fmac_f32_e32 v68, v8, v0
	v_fma_f32 v69, v9, v0, -v69
	v_mul_f32_e32 v0, v14, v3
	s_waitcnt vmcnt(16)
	v_mul_f32_e32 v3, v33, v5
	v_mul_f32_e32 v5, v32, v5
	s_waitcnt vmcnt(15)
	v_mul_f32_e32 v8, v37, v25
	v_mul_f32_e32 v9, v36, v25
	v_fmac_f32_e32 v1, v14, v2
	v_fma_f32 v2, v15, v2, -v0
	v_fmac_f32_e32 v3, v32, v4
	v_fma_f32 v4, v33, v4, -v5
	;; [unrolled: 2-line block ×3, first 2 shown]
	s_waitcnt vmcnt(14)
	v_mul_f32_e32 v0, v21, v7
	v_mul_f32_e32 v5, v20, v7
	ds_write2_b64 v97, v[68:69], v[1:2] offset1:108
	s_waitcnt vmcnt(13)
	v_mul_f32_e32 v2, v43, v27
	ds_write2_b64 v70, v[3:4], v[8:9] offset0:88 offset1:196
	v_mul_f32_e32 v3, v42, v27
	v_fmac_f32_e32 v0, v20, v6
	v_fma_f32 v1, v21, v6, -v5
	s_waitcnt vmcnt(12)
	v_mul_f32_e32 v4, v45, v29
	v_mul_f32_e32 v5, v44, v29
	s_waitcnt vmcnt(11)
	v_mul_f32_e32 v6, v47, v11
	v_mul_f32_e32 v7, v46, v11
	v_fmac_f32_e32 v2, v42, v26
	v_fma_f32 v3, v43, v26, -v3
	v_fmac_f32_e32 v4, v44, v28
	v_fma_f32 v5, v45, v28, -v5
	;; [unrolled: 2-line block ×3, first 2 shown]
	ds_write2_b64 v71, v[0:1], v[2:3] offset0:48 offset1:156
	s_waitcnt vmcnt(9)
	v_mul_f32_e32 v0, v51, v13
	v_mul_f32_e32 v1, v50, v13
	;; [unrolled: 1-line block ×3, first 2 shown]
	ds_write2_b64 v72, v[4:5], v[6:7] offset0:136 offset1:244
	v_mul_f32_e32 v9, v48, v31
	s_waitcnt vmcnt(8)
	v_mul_f32_e32 v2, v53, v35
	s_waitcnt vmcnt(7)
	v_mul_f32_e32 v4, v55, v17
	v_mul_f32_e32 v5, v54, v17
	;; [unrolled: 1-line block ×3, first 2 shown]
	v_fmac_f32_e32 v0, v50, v12
	v_fma_f32 v1, v51, v12, -v1
	s_waitcnt vmcnt(6)
	v_mul_f32_e32 v6, v57, v39
	v_mul_f32_e32 v7, v56, v39
	v_fmac_f32_e32 v4, v54, v16
	v_fma_f32 v5, v55, v16, -v5
	v_fmac_f32_e32 v8, v48, v30
	s_waitcnt vmcnt(5)
	v_mul_f32_e32 v10, v59, v41
	v_mul_f32_e32 v11, v58, v41
	v_fma_f32 v9, v49, v30, -v9
	v_fmac_f32_e32 v2, v52, v34
	v_fma_f32 v3, v53, v34, -v3
	s_waitcnt vmcnt(4)
	v_mul_f32_e32 v12, v61, v19
	v_mul_f32_e32 v13, v60, v19
	v_fmac_f32_e32 v6, v56, v38
	s_waitcnt vmcnt(2)
	v_mul_f32_e32 v14, v63, v67
	v_mul_f32_e32 v15, v62, v67
	s_waitcnt vmcnt(0)
	v_mul_f32_e32 v16, v65, v23
	v_mul_f32_e32 v17, v64, v23
	v_fma_f32 v7, v57, v38, -v7
	v_fmac_f32_e32 v10, v58, v40
	v_fma_f32 v11, v59, v40, -v11
	v_fmac_f32_e32 v12, v60, v18
	;; [unrolled: 2-line block ×4, first 2 shown]
	v_fma_f32 v17, v65, v22, -v17
	ds_write2_b64 v73, v[8:9], v[0:1] offset0:96 offset1:204
	ds_write2_b64 v74, v[2:3], v[4:5] offset0:56 offset1:164
	ds_write2_b64 v75, v[6:7], v[10:11] offset0:16 offset1:124
	ds_write2_b64 v76, v[12:13], v[14:15] offset0:104 offset1:212
	ds_write_b64 v97, v[16:17] offset:13824
.LBB0_3:
	s_or_b32 exec_lo, exec_lo, s1
	s_clause 0x1
	s_load_dwordx2 s[2:3], s[4:5], 0x20
	s_load_dwordx2 s[0:1], s[4:5], 0x8
	v_mov_b32_e32 v4, 0
	v_mov_b32_e32 v5, 0
	s_waitcnt lgkmcnt(0)
	s_barrier
	buffer_gl0_inv
                                        ; implicit-def: $vgpr26
                                        ; implicit-def: $vgpr18
                                        ; implicit-def: $vgpr12
                                        ; implicit-def: $vgpr8
                                        ; implicit-def: $vgpr40
                                        ; implicit-def: $vgpr38
                                        ; implicit-def: $vgpr30
                                        ; implicit-def: $vgpr34
	s_and_saveexec_b32 s4, vcc_lo
	s_cbranch_execz .LBB0_5
; %bb.4:
	v_add_nc_u32_e32 v0, 0x400, v97
	v_add_nc_u32_e32 v1, 0xc00, v97
	;; [unrolled: 1-line block ×3, first 2 shown]
	ds_read2_b64 v[4:7], v97 offset1:108
	v_add_nc_u32_e32 v3, 0x2800, v97
	ds_read2_b64 v[32:35], v0 offset0:88 offset1:196
	ds_read2_b64 v[28:31], v1 offset0:48 offset1:156
	v_add_nc_u32_e32 v0, 0x1800, v97
	v_add_nc_u32_e32 v1, 0x2000, v97
	;; [unrolled: 1-line block ×3, first 2 shown]
	ds_read2_b64 v[36:39], v2 offset0:136 offset1:244
	ds_read2_b64 v[24:27], v0 offset0:96 offset1:204
	;; [unrolled: 1-line block ×5, first 2 shown]
	ds_read_b64 v[40:41], v97 offset:13824
.LBB0_5:
	s_or_b32 exec_lo, exec_lo, s4
	s_waitcnt lgkmcnt(0)
	v_sub_f32_e32 v46, v7, v41
	v_add_f32_e32 v50, v40, v6
	v_sub_f32_e32 v48, v33, v11
	v_sub_f32_e32 v47, v6, v40
	v_add_f32_e32 v52, v10, v32
	v_mul_f32_e32 v58, 0xbeb8f4ab, v46
	v_sub_f32_e32 v103, v35, v9
	v_mul_f32_e32 v60, 0xbf2c7751, v48
	v_add_f32_e32 v51, v41, v7
	v_mul_f32_e32 v65, 0xbeb8f4ab, v47
	v_fmamk_f32 v0, v50, 0x3f6eb680, v58
	v_sub_f32_e32 v49, v32, v10
	v_fmamk_f32 v3, v52, 0x3f3d2fb0, v60
	v_add_f32_e32 v54, v8, v34
	v_mul_f32_e32 v64, 0xbf65296c, v103
	v_add_f32_e32 v0, v0, v4
	v_sub_f32_e32 v105, v29, v15
	v_fma_f32 v1, 0x3f6eb680, v51, -v65
	v_add_f32_e32 v53, v11, v33
	v_mul_f32_e32 v70, 0xbf2c7751, v49
	v_add_f32_e32 v0, v3, v0
	v_sub_f32_e32 v104, v34, v8
	v_fmamk_f32 v21, v54, 0x3ee437d1, v64
	v_add_f32_e32 v56, v14, v28
	v_mul_f32_e32 v67, 0xbf7ee86f, v105
	v_sub_f32_e32 v115, v31, v13
	v_add_f32_e32 v1, v1, v5
	v_fma_f32 v3, 0x3f3d2fb0, v53, -v70
	v_add_f32_e32 v55, v9, v35
	v_mul_f32_e32 v69, 0xbf65296c, v104
	v_sub_f32_e32 v108, v28, v14
	v_add_f32_e32 v0, v21, v0
	v_fmamk_f32 v21, v56, 0x3dbcf732, v67
	v_add_f32_e32 v59, v12, v30
	v_mul_f32_e32 v73, 0xbf763a35, v115
	v_sub_f32_e32 v117, v37, v19
	v_mul_f32_e32 v74, 0xbf2c7751, v46
	v_add_f32_e32 v1, v3, v1
	v_fma_f32 v22, 0x3ee437d1, v55, -v69
	v_add_f32_e32 v57, v15, v29
	v_mul_f32_e32 v75, 0xbf7ee86f, v108
	v_sub_f32_e32 v116, v30, v12
	v_add_f32_e32 v0, v21, v0
	v_fmamk_f32 v21, v59, 0xbe8c1d8e, v73
	v_add_f32_e32 v62, v18, v36
	v_mul_f32_e32 v76, 0xbf4c4adb, v117
	v_sub_f32_e32 v124, v39, v17
	v_fmamk_f32 v2, v50, 0x3f3d2fb0, v74
	v_mul_f32_e32 v79, 0xbf2c7751, v47
	v_mul_f32_e32 v78, 0xbf7ee86f, v48
	v_add_f32_e32 v1, v22, v1
	v_fma_f32 v22, 0x3dbcf732, v57, -v75
	v_add_f32_e32 v61, v13, v31
	v_mul_f32_e32 v77, 0xbf763a35, v116
	v_sub_f32_e32 v118, v36, v18
	v_add_f32_e32 v0, v21, v0
	v_fmamk_f32 v21, v62, 0xbf1a4643, v76
	v_add_f32_e32 v66, v16, v38
	v_mul_f32_e32 v83, 0xbf06c442, v124
	v_add_f32_e32 v2, v2, v4
	v_fma_f32 v20, 0x3f3d2fb0, v51, -v79
	v_fmamk_f32 v3, v52, 0x3dbcf732, v78
	v_add_f32_e32 v1, v22, v1
	v_fma_f32 v22, 0xbe8c1d8e, v61, -v77
	v_add_f32_e32 v63, v19, v37
	v_mul_f32_e32 v84, 0xbf4c4adb, v118
	v_sub_f32_e32 v126, v38, v16
	v_add_f32_e32 v0, v21, v0
	v_fmamk_f32 v21, v66, 0xbf59a7d5, v83
	v_mul_f32_e32 v94, 0xbf7ee86f, v49
	v_mul_f32_e32 v93, 0xbf4c4adb, v103
	v_add_f32_e32 v1, v22, v1
	v_fma_f32 v22, 0xbf1a4643, v63, -v84
	v_add_f32_e32 v68, v17, v39
	v_mul_f32_e32 v86, 0xbf06c442, v126
	v_sub_f32_e32 v129, v25, v27
	v_add_f32_e32 v2, v3, v2
	v_add_f32_e32 v0, v21, v0
	;; [unrolled: 1-line block ×3, first 2 shown]
	v_fma_f32 v20, 0x3dbcf732, v53, -v94
	v_fmamk_f32 v21, v54, 0xbf1a4643, v93
	v_mul_f32_e32 v95, 0xbf4c4adb, v104
	v_mul_f32_e32 v91, 0xbe3c28d5, v105
	v_add_f32_e32 v1, v22, v1
	v_sub_f32_e32 v130, v24, v26
	v_fma_f32 v22, 0xbf59a7d5, v68, -v86
	v_add_f32_e32 v71, v26, v24
	v_mul_f32_e32 v85, 0xbe3c28d5, v129
	v_add_f32_e32 v3, v20, v3
	v_add_f32_e32 v2, v21, v2
	v_fma_f32 v20, 0xbf1a4643, v55, -v95
	v_fmamk_f32 v21, v56, 0xbf7ba420, v91
	v_mul_f32_e32 v96, 0xbe3c28d5, v108
	v_mul_f32_e32 v92, 0x3f06c442, v115
	v_add_f32_e32 v72, v27, v25
	v_mul_f32_e32 v87, 0xbe3c28d5, v130
	v_add_f32_e32 v1, v22, v1
	v_fmamk_f32 v22, v71, 0xbf7ba420, v85
	v_add_f32_e32 v3, v20, v3
	v_add_f32_e32 v2, v21, v2
	v_fma_f32 v20, 0xbf7ba420, v57, -v96
	v_mul_f32_e32 v100, 0x3f06c442, v116
	v_fmamk_f32 v21, v59, 0xbf59a7d5, v92
	v_mul_f32_e32 v88, 0x3f763a35, v117
	v_fma_f32 v23, 0xbf7ba420, v72, -v87
	v_add_f32_e32 v81, v22, v0
	v_add_f32_e32 v0, v20, v3
	v_fma_f32 v3, 0xbf59a7d5, v61, -v100
	v_add_f32_e32 v2, v21, v2
	v_fmamk_f32 v20, v62, 0xbe8c1d8e, v88
	v_mul_f32_e32 v99, 0x3f763a35, v118
	v_mul_f32_e32 v112, 0xbf65296c, v46
	v_add_f32_e32 v82, v23, v1
	v_add_f32_e32 v0, v3, v0
	;; [unrolled: 1-line block ×3, first 2 shown]
	v_fma_f32 v2, 0xbe8c1d8e, v63, -v99
	v_mul_f32_e32 v89, 0x3f65296c, v124
	v_fmamk_f32 v3, v50, 0x3ee437d1, v112
	v_mul_f32_e32 v114, 0xbf4c4adb, v48
	v_mul_f32_e32 v107, 0x3e3c28d5, v103
	v_add_f32_e32 v0, v2, v0
	v_fmamk_f32 v2, v66, 0x3ee437d1, v89
	v_add_f32_e32 v3, v3, v4
	v_fmamk_f32 v21, v52, 0xbf1a4643, v114
	v_mul_f32_e32 v106, 0x3f763a35, v105
	v_mul_f32_e32 v122, 0xbf65296c, v47
	v_add_f32_e32 v1, v2, v1
	v_mul_f32_e32 v111, 0x3f2c7751, v115
	v_add_f32_e32 v2, v21, v3
	v_fmamk_f32 v3, v54, 0xbf7ba420, v107
	v_mul_f32_e32 v101, 0x3f65296c, v126
	v_fma_f32 v22, 0x3ee437d1, v51, -v122
	v_mul_f32_e32 v125, 0xbf4c4adb, v49
	v_mul_f32_e32 v113, 0xbeb8f4ab, v117
	v_add_f32_e32 v2, v3, v2
	v_fmamk_f32 v3, v56, 0xbe8c1d8e, v106
	v_fma_f32 v20, 0x3ee437d1, v68, -v101
	v_mul_f32_e32 v90, 0x3eb8f4ab, v129
	v_add_f32_e32 v22, v22, v5
	v_fma_f32 v23, 0xbf1a4643, v53, -v125
	v_add_f32_e32 v2, v3, v2
	v_fmamk_f32 v3, v59, 0x3f3d2fb0, v111
	v_mul_f32_e32 v123, 0x3e3c28d5, v104
	v_mul_f32_e32 v110, 0xbf7ee86f, v124
	v_add_f32_e32 v0, v20, v0
	v_mul_f32_e32 v102, 0x3eb8f4ab, v130
	v_add_f32_e32 v2, v3, v2
	v_fmamk_f32 v3, v62, 0x3f6eb680, v113
	v_fmamk_f32 v20, v71, 0x3f6eb680, v90
	v_add_f32_e32 v22, v23, v22
	v_fma_f32 v23, 0xbf7ba420, v55, -v123
	v_mul_f32_e32 v121, 0x3f763a35, v108
	v_add_f32_e32 v3, v3, v2
	v_fmamk_f32 v42, v66, 0x3dbcf732, v110
	v_mul_f32_e32 v109, 0xbf06c442, v129
	v_fma_f32 v21, 0x3f6eb680, v72, -v102
	v_add_f32_e32 v22, v23, v22
	v_fma_f32 v23, 0xbe8c1d8e, v57, -v121
	v_mul_f32_e32 v120, 0x3f2c7751, v116
	v_add_f32_e32 v2, v20, v1
	v_add_f32_e32 v1, v42, v3
	v_fmamk_f32 v20, v71, 0xbf59a7d5, v109
	v_mul_f32_e32 v131, 0xbf7ee86f, v46
	v_add_f32_e32 v22, v23, v22
	v_fma_f32 v23, 0x3f3d2fb0, v61, -v120
	v_add_f32_e32 v3, v21, v0
	v_add_f32_e32 v0, v20, v1
	v_fmamk_f32 v20, v50, 0x3dbcf732, v131
	v_mul_f32_e32 v135, 0xbe3c28d5, v48
	v_add_f32_e32 v1, v23, v22
	v_mul_f32_e32 v136, 0x3f763a35, v103
	v_mul_f32_e32 v138, 0x3eb8f4ab, v105
	v_add_f32_e32 v20, v20, v4
	v_fmamk_f32 v22, v52, 0xbf7ba420, v135
	v_mul_f32_e32 v133, 0xbf65296c, v115
	v_mul_f32_e32 v134, 0xbf06c442, v117
	;; [unrolled: 1-line block ×4, first 2 shown]
	v_add_f32_e32 v20, v22, v20
	v_fmamk_f32 v22, v54, 0xbe8c1d8e, v136
	v_mul_f32_e32 v166, 0xbf763a35, v46
	v_mul_f32_e32 v182, 0xbf763a35, v47
	v_fma_f32 v21, 0x3dbcf732, v51, -v145
	v_mul_f32_e32 v147, 0xbe3c28d5, v49
	v_add_f32_e32 v20, v22, v20
	v_fmamk_f32 v22, v56, 0x3f6eb680, v138
	v_mul_f32_e32 v176, 0x3f06c442, v48
	v_fma_f32 v43, 0xbe8c1d8e, v51, -v182
	v_mul_f32_e32 v184, 0x3f06c442, v49
	v_add_f32_e32 v21, v21, v5
	v_add_f32_e32 v20, v22, v20
	v_fmamk_f32 v22, v59, 0x3ee437d1, v133
	v_fma_f32 v23, 0xbf7ba420, v53, -v147
	v_mul_f32_e32 v149, 0x3f763a35, v104
	v_fmamk_f32 v44, v52, 0xbf59a7d5, v176
	v_mul_f32_e32 v175, 0x3f2c7751, v103
	v_add_f32_e32 v20, v22, v20
	v_fmamk_f32 v22, v62, 0xbf59a7d5, v134
	v_add_f32_e32 v43, v43, v5
	v_fma_f32 v45, 0xbf59a7d5, v53, -v184
	v_mul_f32_e32 v183, 0x3f2c7751, v104
	v_add_f32_e32 v21, v23, v21
	v_add_f32_e32 v20, v22, v20
	v_fmamk_f32 v22, v66, 0xbf1a4643, v137
	v_fma_f32 v23, 0xbe8c1d8e, v55, -v149
	v_mul_f32_e32 v150, 0x3eb8f4ab, v108
	v_mul_f32_e32 v174, 0xbf65296c, v105
	v_add_f32_e32 v43, v45, v43
	v_add_f32_e32 v20, v22, v20
	v_fmamk_f32 v22, v50, 0xbe8c1d8e, v166
	v_fma_f32 v45, 0x3f3d2fb0, v55, -v183
	v_mul_f32_e32 v181, 0xbf65296c, v108
	v_add_f32_e32 v21, v23, v21
	v_fma_f32 v23, 0x3f6eb680, v57, -v150
	v_add_f32_e32 v22, v22, v4
	v_mul_f32_e32 v144, 0xbf65296c, v116
	v_mul_f32_e32 v173, 0xbe3c28d5, v115
	v_add_f32_e32 v43, v45, v43
	v_fma_f32 v45, 0x3ee437d1, v57, -v181
	v_add_f32_e32 v22, v44, v22
	v_fmamk_f32 v44, v54, 0x3f3d2fb0, v175
	v_mul_f32_e32 v180, 0xbe3c28d5, v116
	v_mul_f32_e32 v119, 0xbeb8f4ab, v118
	v_add_f32_e32 v21, v23, v21
	v_fma_f32 v23, 0x3ee437d1, v61, -v144
	v_add_f32_e32 v22, v44, v22
	v_fmamk_f32 v44, v56, 0x3ee437d1, v174
	;; [unrolled: 6-line block ×3, first 2 shown]
	v_mul_f32_e32 v179, 0x3f7ee86f, v118
	v_fma_f32 v42, 0x3f6eb680, v63, -v119
	v_mul_f32_e32 v127, 0xbf7ee86f, v126
	v_add_f32_e32 v21, v23, v21
	v_fma_f32 v23, 0xbf59a7d5, v63, -v146
	v_mul_f32_e32 v148, 0x3f4c4adb, v126
	v_add_f32_e32 v22, v44, v22
	v_fmamk_f32 v44, v62, 0x3dbcf732, v172
	v_mul_f32_e32 v171, 0xbeb8f4ab, v124
	v_add_f32_e32 v43, v45, v43
	v_fma_f32 v45, 0x3dbcf732, v63, -v179
	v_mul_f32_e32 v178, 0xbeb8f4ab, v126
	v_add_f32_e32 v1, v42, v1
	v_fma_f32 v42, 0x3dbcf732, v68, -v127
	;; [unrolled: 3-line block ×3, first 2 shown]
	v_mul_f32_e32 v132, 0x3f2c7751, v129
	v_mul_f32_e32 v151, 0x3f2c7751, v130
	v_add_f32_e32 v22, v44, v22
	v_fmamk_f32 v44, v66, 0x3f6eb680, v171
	v_mul_f32_e32 v170, 0xbf4c4adb, v129
	v_add_f32_e32 v43, v45, v43
	v_fma_f32 v45, 0x3f6eb680, v68, -v178
	v_mul_f32_e32 v177, 0xbf4c4adb, v130
	v_add_f32_e32 v1, v42, v1
	v_fma_f32 v42, 0xbf59a7d5, v72, -v128
	v_add_f32_e32 v21, v23, v21
	v_fmamk_f32 v23, v71, 0x3f3d2fb0, v132
	v_fma_f32 v139, 0x3f3d2fb0, v72, -v151
	v_add_f32_e32 v44, v44, v22
	v_fmamk_f32 v140, v71, 0xbf1a4643, v170
	v_add_f32_e32 v43, v45, v43
	v_fma_f32 v45, 0xbf1a4643, v72, -v177
	v_add_f32_e32 v1, v42, v1
	v_add_f32_e32 v22, v23, v20
	;; [unrolled: 1-line block ×5, first 2 shown]
	s_barrier
	buffer_gl0_inv
	s_and_saveexec_b32 s4, vcc_lo
	s_cbranch_execz .LBB0_7
; %bb.6:
	v_mul_f32_e32 v44, 0xbf59a7d5, v51
	v_mul_f32_e32 v45, 0x3ee437d1, v53
	;; [unrolled: 1-line block ×5, first 2 shown]
	v_fmamk_f32 v42, v47, 0x3f06c442, v44
	v_fmamk_f32 v43, v49, 0xbf65296c, v45
	;; [unrolled: 1-line block ×3, first 2 shown]
	v_mul_f32_e32 v163, 0x3f6eb680, v61
	v_mul_f32_e32 v168, 0x3f65296c, v48
	v_add_f32_e32 v42, v42, v5
	v_fmamk_f32 v140, v50, 0xbf59a7d5, v157
	v_mul_f32_e32 v164, 0xbf7ba420, v63
	v_mul_f32_e32 v169, 0xbf7ee86f, v103
	v_fmamk_f32 v141, v52, 0x3ee437d1, v168
	v_add_f32_e32 v42, v43, v42
	v_fmamk_f32 v43, v108, 0xbf4c4adb, v162
	v_add_f32_e32 v140, v140, v4
	v_mul_f32_e32 v165, 0x3f3d2fb0, v68
	v_mul_f32_e32 v185, 0x3f4c4adb, v105
	v_add_f32_e32 v42, v139, v42
	v_fmamk_f32 v139, v116, 0x3eb8f4ab, v163
	v_mul_f32_e32 v152, 0xbe3c28d5, v47
	v_fmamk_f32 v142, v54, 0x3dbcf732, v169
	v_add_f32_e32 v140, v141, v140
	v_add_f32_e32 v42, v43, v42
	v_fmamk_f32 v43, v118, 0x3e3c28d5, v164
	v_mul_f32_e32 v186, 0xbeb8f4ab, v115
	v_mul_f32_e32 v153, 0x3eb8f4ab, v49
	v_fmamk_f32 v141, v56, 0xbf1a4643, v185
	v_add_f32_e32 v42, v139, v42
	v_fmamk_f32 v139, v126, 0xbf2c7751, v165
	v_fmamk_f32 v143, v51, 0xbf7ba420, v152
	v_add_f32_e32 v140, v142, v140
	v_mul_f32_e32 v154, 0xbf06c442, v104
	v_add_f32_e32 v42, v43, v42
	v_fmamk_f32 v43, v53, 0x3f6eb680, v153
	v_add_f32_e32 v142, v143, v5
	v_add_f32_e32 v140, v141, v140
	v_mul_f32_e32 v187, 0xbe3c28d5, v117
	v_add_f32_e32 v42, v139, v42
	v_fmamk_f32 v139, v59, 0x3f6eb680, v186
	v_add_f32_e32 v43, v43, v142
	v_fmamk_f32 v141, v55, 0xbf59a7d5, v154
	v_mul_f32_e32 v155, 0x3f2c7751, v108
	v_mul_f32_e32 v156, 0xbe3c28d5, v46
	v_add_f32_e32 v139, v139, v140
	v_fmamk_f32 v140, v62, 0xbf7ba420, v187
	v_mul_f32_e32 v188, 0x3f2c7751, v124
	v_add_f32_e32 v43, v141, v43
	v_fmamk_f32 v141, v57, 0x3f3d2fb0, v155
	v_mul_f32_e32 v167, 0xbe8c1d8e, v72
	v_add_f32_e32 v142, v140, v139
	v_fma_f32 v140, 0xbf7ba420, v50, -v156
	v_mul_f32_e32 v139, 0x3eb8f4ab, v48
	v_fmamk_f32 v143, v66, 0x3f3d2fb0, v188
	v_add_f32_e32 v43, v141, v43
	v_mul_f32_e32 v159, 0xbf4c4adb, v116
	v_add_f32_e32 v141, v140, v4
	v_fma_f32 v190, 0x3f6eb680, v52, -v139
	v_mul_f32_e32 v140, 0xbf06c442, v103
	v_add_f32_e32 v143, v143, v142
	v_mul_f32_e32 v189, 0xbf763a35, v129
	v_fmamk_f32 v161, v61, 0xbf1a4643, v159
	v_add_f32_e32 v142, v190, v141
	v_fma_f32 v190, 0xbf59a7d5, v54, -v140
	v_mul_f32_e32 v141, 0x3f2c7751, v105
	v_fmamk_f32 v191, v130, 0x3f763a35, v167
	v_mul_f32_e32 v160, 0x3f65296c, v118
	v_fmamk_f32 v192, v71, 0xbe8c1d8e, v189
	v_add_f32_e32 v190, v190, v142
	v_fma_f32 v195, 0x3f3d2fb0, v56, -v141
	v_mul_f32_e32 v142, 0xbf4c4adb, v115
	v_add_f32_e32 v193, v161, v43
	v_add_f32_e32 v43, v191, v42
	v_fmac_f32_e32 v44, 0xbf06c442, v47
	v_add_f32_e32 v190, v195, v190
	v_fma_f32 v191, 0xbf1a4643, v59, -v142
	v_fmamk_f32 v194, v63, 0x3ee437d1, v160
	v_add_f32_e32 v42, v192, v143
	v_mul_f32_e32 v143, 0x3f65296c, v117
	v_add_f32_e32 v44, v44, v5
	v_add_f32_e32 v190, v191, v190
	v_fma_f32 v191, 0xbf59a7d5, v50, -v157
	v_fmac_f32_e32 v45, 0x3f65296c, v49
	v_add_f32_e32 v192, v194, v193
	v_fma_f32 v194, 0x3ee437d1, v62, -v143
	v_mul_f32_e32 v157, 0xbf763a35, v124
	v_add_f32_e32 v191, v191, v4
	v_fma_f32 v168, 0x3ee437d1, v52, -v168
	v_add_f32_e32 v44, v45, v44
	v_fmac_f32_e32 v158, 0xbf7ee86f, v104
	v_add_f32_e32 v190, v194, v190
	v_fma_f32 v45, 0xbe8c1d8e, v66, -v157
	v_add_f32_e32 v168, v168, v191
	v_fma_f32 v169, 0x3dbcf732, v54, -v169
	v_add_f32_e32 v44, v158, v44
	v_fmac_f32_e32 v162, 0x3f4c4adb, v108
	v_mul_f32_e32 v161, 0xbf763a35, v126
	v_add_f32_e32 v190, v45, v190
	v_add_f32_e32 v45, v169, v168
	v_fma_f32 v158, 0xbf1a4643, v56, -v185
	v_add_f32_e32 v44, v162, v44
	v_fmac_f32_e32 v163, 0xbeb8f4ab, v116
	v_fmamk_f32 v193, v68, 0xbe8c1d8e, v161
	v_fma_f32 v168, 0x3f6eb680, v59, -v186
	v_add_f32_e32 v45, v158, v45
	v_mul_f32_e32 v162, 0x3f7ee86f, v130
	v_add_f32_e32 v44, v163, v44
	v_fmac_f32_e32 v164, 0xbe3c28d5, v118
	v_add_f32_e32 v191, v193, v192
	v_add_f32_e32 v45, v168, v45
	v_fma_f32 v163, 0xbf7ba420, v62, -v187
	v_fmamk_f32 v168, v72, 0x3dbcf732, v162
	v_add_f32_e32 v164, v164, v44
	v_fmac_f32_e32 v165, 0x3f2c7751, v126
	v_fmac_f32_e32 v167, 0xbf763a35, v130
	v_add_f32_e32 v169, v163, v45
	v_add_f32_e32 v45, v168, v191
	v_fma_f32 v168, 0x3f3d2fb0, v66, -v188
	v_add_f32_e32 v165, v165, v164
	v_mul_f32_e32 v163, 0xbf4c4adb, v47
	v_mul_f32_e32 v164, 0xbf4c4adb, v46
	;; [unrolled: 1-line block ×3, first 2 shown]
	v_add_f32_e32 v168, v168, v169
	v_fma_f32 v169, 0xbe8c1d8e, v71, -v189
	v_add_f32_e32 v47, v167, v165
	v_fmamk_f32 v187, v51, 0xbf1a4643, v163
	v_mul_f32_e32 v167, 0x3f763a35, v49
	v_fma_f32 v49, 0xbf1a4643, v50, -v164
	v_mul_f32_e32 v165, 0x3f763a35, v48
	v_add_f32_e32 v46, v169, v168
	v_add_f32_e32 v48, v187, v5
	v_fmamk_f32 v169, v53, 0xbe8c1d8e, v167
	v_mul_f32_e32 v168, 0xbeb8f4ab, v104
	v_add_f32_e32 v49, v49, v4
	v_fma_f32 v104, 0xbe8c1d8e, v52, -v165
	v_mul_f32_e32 v116, 0x3f7ee86f, v116
	v_add_f32_e32 v48, v169, v48
	v_fmamk_f32 v187, v55, 0x3f6eb680, v168
	v_mul_f32_e32 v169, 0xbf06c442, v108
	v_add_f32_e32 v49, v104, v49
	v_fma_f32 v108, 0x3f6eb680, v54, -v103
	v_mul_f32_e32 v104, 0xbf06c442, v105
	v_add_f32_e32 v48, v187, v48
	v_fmamk_f32 v187, v57, 0xbf59a7d5, v169
	v_mul_f32_e32 v105, 0x3f7ee86f, v115
	v_add_f32_e32 v49, v108, v49
	v_fma_f32 v108, 0xbf59a7d5, v56, -v104
	v_fmamk_f32 v115, v61, 0x3dbcf732, v116
	v_add_f32_e32 v48, v187, v48
	v_mul_f32_e32 v118, 0xbf2c7751, v118
	v_fma_f32 v187, 0x3dbcf732, v59, -v105
	v_add_f32_e32 v49, v108, v49
	v_mul_f32_e32 v158, 0x3f7ee86f, v129
	v_add_f32_e32 v48, v115, v48
	v_fmamk_f32 v115, v63, 0x3f3d2fb0, v118
	v_mul_f32_e32 v108, 0xbf2c7751, v117
	v_add_f32_e32 v49, v187, v49
	v_mul_f32_e32 v187, 0xbe8c1d8e, v51
	v_fma_f32 v44, 0x3dbcf732, v71, -v158
	v_add_f32_e32 v48, v115, v48
	v_mul_f32_e32 v189, 0xbf59a7d5, v53
	v_mul_f32_e32 v126, 0xbe3c28d5, v126
	;; [unrolled: 1-line block ×3, first 2 shown]
	v_add_f32_e32 v124, v182, v187
	v_add_f32_e32 v44, v44, v190
	v_fma_f32 v117, 0x3f3d2fb0, v62, -v108
	v_mul_f32_e32 v190, 0x3f3d2fb0, v55
	v_fmamk_f32 v182, v68, 0xbf7ba420, v126
	v_mul_f32_e32 v187, 0x3f65296c, v130
	v_add_f32_e32 v130, v184, v189
	v_add_f32_e32 v124, v124, v5
	;; [unrolled: 1-line block ×3, first 2 shown]
	v_fma_f32 v184, 0xbf7ba420, v66, -v115
	v_mul_f32_e32 v117, 0x3f65296c, v129
	v_add_f32_e32 v48, v182, v48
	v_fmamk_f32 v129, v72, 0x3ee437d1, v187
	v_add_f32_e32 v124, v130, v124
	v_add_f32_e32 v130, v183, v190
	v_mul_f32_e32 v183, 0xbe8c1d8e, v50
	v_add_f32_e32 v182, v184, v49
	v_add_f32_e32 v49, v129, v48
	v_mul_f32_e32 v129, 0x3ee437d1, v57
	v_add_f32_e32 v124, v130, v124
	v_mul_f32_e32 v130, 0xbf59a7d5, v52
	v_sub_f32_e32 v166, v183, v166
	v_add_f32_e32 v7, v7, v5
	v_add_f32_e32 v129, v181, v129
	v_mul_f32_e32 v181, 0xbf7ba420, v61
	v_sub_f32_e32 v130, v130, v176
	v_add_f32_e32 v166, v166, v4
	v_mul_f32_e32 v176, 0x3dbcf732, v51
	v_add_f32_e32 v124, v129, v124
	v_mul_f32_e32 v129, 0x3f3d2fb0, v54
	v_add_f32_e32 v180, v180, v181
	v_add_f32_e32 v130, v130, v166
	v_mul_f32_e32 v166, 0x3dbcf732, v63
	v_add_f32_e32 v145, v145, v176
	v_sub_f32_e32 v129, v129, v175
	v_add_f32_e32 v124, v180, v124
	v_mul_f32_e32 v180, 0x3ee437d1, v56
	v_add_f32_e32 v166, v179, v166
	v_add_f32_e32 v145, v145, v5
	;; [unrolled: 1-line block ×3, first 2 shown]
	v_mul_f32_e32 v130, 0x3f6eb680, v68
	v_sub_f32_e32 v174, v180, v174
	v_add_f32_e32 v124, v166, v124
	v_mul_f32_e32 v166, 0xbf7ba420, v59
	v_add_f32_e32 v6, v6, v4
	v_add_f32_e32 v130, v178, v130
	;; [unrolled: 1-line block ×3, first 2 shown]
	v_mul_f32_e32 v174, 0xbf1a4643, v72
	v_sub_f32_e32 v166, v166, v173
	v_fma_f32 v184, 0x3ee437d1, v71, -v117
	v_add_f32_e32 v124, v130, v124
	v_mul_f32_e32 v183, 0x3dbcf732, v50
	v_add_f32_e32 v130, v177, v174
	v_mul_f32_e32 v174, 0x3dbcf732, v62
	;; [unrolled: 2-line block ×3, first 2 shown]
	v_add_f32_e32 v7, v33, v7
	v_add_f32_e32 v6, v32, v6
	v_sub_f32_e32 v172, v174, v172
	v_mul_f32_e32 v174, 0x3f6eb680, v66
	v_add_f32_e32 v147, v147, v166
	v_mul_f32_e32 v188, 0x3f3d2fb0, v51
	v_add_f32_e32 v48, v184, v182
	v_add_f32_e32 v129, v172, v129
	v_mul_f32_e32 v172, 0xbe8c1d8e, v55
	v_sub_f32_e32 v171, v174, v171
	v_add_f32_e32 v145, v147, v145
	v_mul_f32_e32 v147, 0xbf1a4643, v71
	v_mul_f32_e32 v184, 0xbf7ba420, v52
	v_add_f32_e32 v149, v149, v172
	v_add_f32_e32 v129, v171, v129
	v_mul_f32_e32 v171, 0x3f6eb680, v57
	v_sub_f32_e32 v147, v147, v170
	v_sub_f32_e32 v131, v183, v131
	v_add_f32_e32 v145, v149, v145
	v_add_f32_e32 v7, v35, v7
	v_add_f32_e32 v150, v150, v171
	v_add_f32_e32 v129, v147, v129
	v_mul_f32_e32 v147, 0x3ee437d1, v61
	v_add_f32_e32 v6, v34, v6
	v_mul_f32_e32 v180, 0x3dbcf732, v53
	v_add_f32_e32 v145, v150, v145
	v_sub_f32_e32 v135, v184, v135
	v_add_f32_e32 v144, v144, v147
	v_mul_f32_e32 v147, 0xbf59a7d5, v63
	v_add_f32_e32 v131, v131, v4
	v_add_f32_e32 v79, v79, v188
	;; [unrolled: 1-line block ×4, first 2 shown]
	v_mul_f32_e32 v186, 0x3f3d2fb0, v50
	v_mul_f32_e32 v172, 0xbf1a4643, v55
	;; [unrolled: 1-line block ×3, first 2 shown]
	v_add_f32_e32 v144, v144, v145
	v_add_f32_e32 v146, v146, v147
	;; [unrolled: 1-line block ×3, first 2 shown]
	v_mul_f32_e32 v135, 0xbf1a4643, v68
	v_add_f32_e32 v94, v94, v180
	v_add_f32_e32 v79, v79, v5
	v_add_f32_e32 v7, v31, v7
	v_add_f32_e32 v6, v30, v6
	v_mul_f32_e32 v182, 0x3ee437d1, v51
	v_mul_f32_e32 v179, 0x3dbcf732, v52
	;; [unrolled: 1-line block ×3, first 2 shown]
	v_sub_f32_e32 v136, v171, v136
	v_mul_f32_e32 v171, 0x3f6eb680, v56
	v_add_f32_e32 v144, v146, v144
	v_add_f32_e32 v135, v148, v135
	;; [unrolled: 1-line block ×4, first 2 shown]
	v_sub_f32_e32 v74, v186, v74
	v_add_f32_e32 v7, v37, v7
	v_add_f32_e32 v6, v36, v6
	v_mul_f32_e32 v173, 0xbf1a4643, v53
	v_mul_f32_e32 v174, 0xbf1a4643, v54
	;; [unrolled: 1-line block ×3, first 2 shown]
	v_add_f32_e32 v131, v136, v131
	v_sub_f32_e32 v136, v171, v138
	v_mul_f32_e32 v171, 0xbf59a7d5, v61
	v_add_f32_e32 v135, v135, v144
	v_mul_f32_e32 v144, 0x3ee437d1, v59
	v_add_f32_e32 v122, v122, v182
	v_add_f32_e32 v79, v94, v79
	;; [unrolled: 1-line block ×4, first 2 shown]
	v_sub_f32_e32 v78, v179, v78
	v_add_f32_e32 v7, v39, v7
	v_add_f32_e32 v6, v38, v6
	v_mul_f32_e32 v192, 0x3f6eb680, v51
	v_mul_f32_e32 v177, 0xbf7ba420, v56
	v_add_f32_e32 v131, v136, v131
	v_sub_f32_e32 v133, v144, v133
	v_mul_f32_e32 v144, 0xbf59a7d5, v62
	v_add_f32_e32 v125, v125, v173
	v_add_f32_e32 v122, v122, v5
	;; [unrolled: 1-line block ×3, first 2 shown]
	v_mul_f32_e32 v149, 0xbe8c1d8e, v63
	v_add_f32_e32 v79, v94, v79
	v_add_f32_e32 v94, v100, v171
	;; [unrolled: 1-line block ×3, first 2 shown]
	v_sub_f32_e32 v78, v174, v93
	v_add_f32_e32 v25, v25, v7
	v_add_f32_e32 v6, v24, v6
	v_mul_f32_e32 v189, 0x3ee437d1, v50
	v_mul_f32_e32 v175, 0x3f3d2fb0, v53
	;; [unrolled: 1-line block ×3, first 2 shown]
	v_add_f32_e32 v131, v133, v131
	v_sub_f32_e32 v134, v144, v134
	v_add_f32_e32 v122, v125, v122
	v_mul_f32_e32 v125, 0xbf1a4643, v66
	v_add_f32_e32 v94, v94, v79
	v_add_f32_e32 v99, v99, v149
	;; [unrolled: 1-line block ×4, first 2 shown]
	v_sub_f32_e32 v91, v177, v91
	v_add_f32_e32 v25, v27, v25
	v_add_f32_e32 v6, v26, v6
	v_fma_f32 v26, 0xbf7ba420, v51, -v152
	v_mul_f32_e32 v178, 0xbf1a4643, v52
	v_mul_f32_e32 v166, 0x3ee437d1, v55
	;; [unrolled: 1-line block ×3, first 2 shown]
	v_add_f32_e32 v131, v134, v131
	v_sub_f32_e32 v125, v125, v137
	v_sub_f32_e32 v112, v189, v112
	v_add_f32_e32 v94, v99, v94
	v_add_f32_e32 v65, v65, v5
	v_add_f32_e32 v99, v70, v175
	v_add_f32_e32 v74, v91, v74
	v_sub_f32_e32 v91, v138, v92
	v_add_f32_e32 v17, v17, v25
	v_add_f32_e32 v6, v16, v6
	v_add_f32_e32 v16, v26, v5
	v_fma_f32 v25, 0x3f6eb680, v53, -v153
	v_add_f32_e32 v125, v125, v131
	v_mul_f32_e32 v131, 0x3ee437d1, v66
	v_sub_f32_e32 v114, v178, v114
	v_add_f32_e32 v112, v112, v4
	v_add_f32_e32 v65, v99, v65
	;; [unrolled: 1-line block ×4, first 2 shown]
	v_sub_f32_e32 v88, v144, v88
	v_add_f32_e32 v17, v19, v17
	v_add_f32_e32 v6, v18, v6
	;; [unrolled: 1-line block ×3, first 2 shown]
	v_fma_f32 v18, 0xbf59a7d5, v55, -v154
	v_add_f32_e32 v112, v114, v112
	v_mul_f32_e32 v114, 0x3f6eb680, v71
	v_add_f32_e32 v32, v69, v65
	v_add_f32_e32 v65, v88, v74
	v_sub_f32_e32 v34, v131, v89
	v_add_f32_e32 v13, v13, v17
	v_add_f32_e32 v6, v12, v6
	v_add_f32_e32 v12, v18, v16
	v_fma_f32 v16, 0x3f3d2fb0, v57, -v155
	v_mul_f32_e32 v185, 0x3f6eb680, v50
	v_add_f32_e32 v28, v34, v65
	v_sub_f32_e32 v29, v114, v90
	v_add_f32_e32 v13, v15, v13
	v_add_f32_e32 v6, v14, v6
	v_add_f32_e32 v12, v16, v12
	v_fma_f32 v14, 0xbf1a4643, v61, -v159
	v_mul_f32_e32 v181, 0x3f3d2fb0, v52
	v_add_f32_e32 v69, v29, v28
	v_sub_f32_e32 v28, v185, v58
	v_add_f32_e32 v9, v9, v13
	v_add_f32_e32 v8, v8, v6
	v_add_f32_e32 v12, v14, v12
	v_fma_f32 v13, 0x3ee437d1, v63, -v160
	v_mul_f32_e32 v176, 0x3ee437d1, v54
	v_add_f32_e32 v28, v28, v4
	v_sub_f32_e32 v31, v181, v60
	v_add_f32_e32 v9, v11, v9
	v_add_f32_e32 v8, v10, v8
	v_add_f32_e32 v10, v13, v12
	v_fma_f32 v11, 0xbe8c1d8e, v68, -v161
	v_mul_f32_e32 v170, 0xbf7ba420, v54
	v_mul_f32_e32 v147, 0xbe8c1d8e, v57
	v_fmac_f32_e32 v156, 0xbf7ba420, v50
	v_add_f32_e32 v130, v130, v124
	v_mul_f32_e32 v124, 0x3dbcf732, v56
	v_add_f32_e32 v24, v31, v28
	v_sub_f32_e32 v28, v176, v64
	v_add_f32_e32 v10, v11, v10
	v_fma_f32 v11, 0xbf1a4643, v51, -v163
	v_fmac_f32_e32 v164, 0xbf1a4643, v50
	v_mul_f32_e32 v145, 0xbe8c1d8e, v56
	v_mul_f32_e32 v182, 0x3f3d2fb0, v61
	v_add_f32_e32 v122, v123, v122
	v_add_f32_e32 v121, v121, v147
	v_sub_f32_e32 v170, v170, v107
	v_add_f32_e32 v12, v156, v4
	v_fmac_f32_e32 v139, 0x3f6eb680, v52
	v_mul_f32_e32 v150, 0x3dbcf732, v57
	v_mul_f32_e32 v146, 0xbe8c1d8e, v59
	v_add_f32_e32 v24, v28, v24
	v_sub_f32_e32 v27, v124, v67
	v_add_f32_e32 v5, v11, v5
	v_fma_f32 v11, 0xbe8c1d8e, v53, -v167
	v_add_f32_e32 v4, v164, v4
	v_fmac_f32_e32 v165, 0xbe8c1d8e, v52
	v_mul_f32_e32 v136, 0x3f3d2fb0, v59
	v_mul_f32_e32 v123, 0x3f6eb680, v63
	v_add_f32_e32 v121, v121, v122
	v_add_f32_e32 v120, v120, v182
	;; [unrolled: 1-line block ×3, first 2 shown]
	v_sub_f32_e32 v106, v145, v106
	v_add_f32_e32 v12, v139, v12
	v_fmac_f32_e32 v140, 0xbf59a7d5, v54
	v_mul_f32_e32 v148, 0xbe8c1d8e, v61
	v_mul_f32_e32 v173, 0xbf1a4643, v62
	v_add_f32_e32 v33, v75, v150
	v_add_f32_e32 v24, v27, v24
	v_sub_f32_e32 v26, v146, v73
	v_add_f32_e32 v5, v11, v5
	v_fma_f32 v11, 0x3f6eb680, v55, -v168
	v_add_f32_e32 v4, v165, v4
	v_fmac_f32_e32 v103, 0x3f6eb680, v54
	v_mul_f32_e32 v134, 0x3f6eb680, v62
	v_mul_f32_e32 v178, 0x3dbcf732, v68
	v_add_f32_e32 v120, v120, v121
	v_add_f32_e32 v119, v119, v123
	;; [unrolled: 1-line block ×3, first 2 shown]
	v_sub_f32_e32 v111, v136, v111
	v_add_f32_e32 v12, v140, v12
	v_fmac_f32_e32 v141, 0x3f3d2fb0, v56
	v_mul_f32_e32 v133, 0xbf1a4643, v63
	v_mul_f32_e32 v137, 0x3f3d2fb0, v72
	;; [unrolled: 1-line block ×4, first 2 shown]
	v_add_f32_e32 v32, v33, v32
	v_add_f32_e32 v33, v77, v148
	;; [unrolled: 1-line block ×3, first 2 shown]
	v_sub_f32_e32 v24, v173, v76
	v_add_f32_e32 v5, v11, v5
	v_fma_f32 v11, 0xbf59a7d5, v57, -v169
	v_add_f32_e32 v4, v103, v4
	v_fmac_f32_e32 v104, 0xbf59a7d5, v56
	v_mul_f32_e32 v182, 0x3dbcf732, v66
	v_mul_f32_e32 v180, 0xbf59a7d5, v72
	v_add_f32_e32 v95, v119, v120
	v_add_f32_e32 v119, v127, v178
	;; [unrolled: 1-line block ×3, first 2 shown]
	v_sub_f32_e32 v111, v134, v113
	v_add_f32_e32 v12, v141, v12
	v_fmac_f32_e32 v142, 0xbf1a4643, v59
	v_add_f32_e32 v137, v151, v137
	v_mul_f32_e32 v151, 0xbf59a7d5, v68
	v_sub_f32_e32 v132, v184, v132
	v_mul_f32_e32 v184, 0xbf7ba420, v71
	v_add_f32_e32 v32, v33, v32
	v_add_f32_e32 v30, v84, v133
	;; [unrolled: 1-line block ×3, first 2 shown]
	v_sub_f32_e32 v18, v147, v83
	v_add_f32_e32 v5, v11, v5
	v_fma_f32 v11, 0x3dbcf732, v61, -v116
	v_add_f32_e32 v4, v104, v4
	v_fmac_f32_e32 v105, 0x3dbcf732, v59
	v_mul_f32_e32 v122, 0x3ee437d1, v68
	v_add_f32_e32 v95, v119, v95
	v_add_f32_e32 v100, v128, v180
	;; [unrolled: 1-line block ×3, first 2 shown]
	v_sub_f32_e32 v110, v182, v110
	v_add_f32_e32 v12, v142, v12
	v_fmac_f32_e32 v143, 0x3ee437d1, v62
	v_mul_f32_e32 v121, 0xbf7ba420, v72
	v_add_f32_e32 v29, v30, v32
	v_add_f32_e32 v30, v86, v151
	;; [unrolled: 1-line block ×3, first 2 shown]
	v_sub_f32_e32 v16, v184, v85
	v_add_f32_e32 v5, v11, v5
	v_fma_f32 v11, 0x3f3d2fb0, v63, -v118
	v_add_f32_e32 v4, v105, v4
	v_fmac_f32_e32 v108, 0x3f3d2fb0, v62
	v_mul_f32_e32 v188, 0x3f6eb680, v72
	v_mul_f32_e32 v189, 0xbf59a7d5, v71
	v_add_f32_e32 v79, v100, v95
	v_add_f32_e32 v95, v110, v96
	;; [unrolled: 1-line block ×4, first 2 shown]
	v_fmac_f32_e32 v157, 0xbe8c1d8e, v66
	v_add_f32_e32 v29, v30, v29
	v_add_f32_e32 v30, v87, v121
	;; [unrolled: 1-line block ×4, first 2 shown]
	v_fma_f32 v11, 0xbf7ba420, v68, -v126
	v_add_f32_e32 v4, v108, v4
	v_fmac_f32_e32 v115, 0xbf7ba420, v66
	v_mul_lo_u16 v14, v98, 17
	v_mov_b32_e32 v15, 3
	v_sub_f32_e32 v93, v189, v109
	v_add_f32_e32 v94, v96, v94
	v_add_f32_e32 v96, v102, v188
	v_fma_f32 v13, 0x3dbcf732, v72, -v162
	v_add_f32_e32 v12, v157, v12
	v_fmac_f32_e32 v158, 0x3dbcf732, v71
	v_add_f32_e32 v7, v30, v29
	v_add_f32_e32 v9, v41, v9
	;; [unrolled: 1-line block ×4, first 2 shown]
	v_fma_f32 v16, 0x3ee437d1, v72, -v187
	v_add_f32_e32 v17, v115, v4
	v_fmac_f32_e32 v117, 0x3ee437d1, v71
	v_lshlrev_b32_sdwa v14, v15, v14 dst_sel:DWORD dst_unused:UNUSED_PAD src0_sel:DWORD src1_sel:WORD_0
	v_add_f32_e32 v78, v93, v95
	v_add_f32_e32 v70, v96, v94
	;; [unrolled: 1-line block ×8, first 2 shown]
	ds_write2_b64 v14, v[8:9], v[6:7] offset1:1
	ds_write2_b64 v14, v[69:70], v[78:79] offset0:2 offset1:3
	ds_write2_b64 v14, v[106:107], v[129:130] offset0:4 offset1:5
	ds_write2_b64 v14, v[48:49], v[46:47] offset0:6 offset1:7
	ds_write2_b64 v14, v[44:45], v[4:5] offset0:8 offset1:9
	ds_write2_b64 v14, v[42:43], v[10:11] offset0:10 offset1:11
	ds_write2_b64 v14, v[20:21], v[22:23] offset0:12 offset1:13
	ds_write2_b64 v14, v[0:1], v[2:3] offset0:14 offset1:15
	ds_write_b64 v14, v[81:82] offset:128
.LBB0_7:
	s_or_b32 exec_lo, exec_lo, s4
	v_and_b32_e32 v24, 0xff, v98
	v_add_co_u32 v51, null, 0x99, v98
	v_mov_b32_e32 v4, 0xf0f1
	v_add_nc_u32_e32 v41, 0x132, v98
	v_mul_lo_u16 v5, 0xf1, v24
	v_add_nc_u32_e32 v42, 0x1cb, v98
	v_mov_b32_e32 v40, 3
	v_mul_u32_u24_sdwa v6, v51, v4 dst_sel:DWORD dst_unused:UNUSED_PAD src0_sel:WORD_0 src1_sel:DWORD
	s_load_dwordx4 s[4:7], s[2:3], 0x0
	v_lshrrev_b16 v52, 12, v5
	v_mul_u32_u24_sdwa v5, v41, v4 dst_sel:DWORD dst_unused:UNUSED_PAD src0_sel:WORD_0 src1_sel:DWORD
	v_mul_u32_u24_sdwa v4, v42, v4 dst_sel:DWORD dst_unused:UNUSED_PAD src0_sel:WORD_0 src1_sel:DWORD
	v_lshrrev_b32_e32 v53, 20, v6
	s_waitcnt lgkmcnt(0)
	v_mul_lo_u16 v6, v52, 17
	v_lshrrev_b32_e32 v54, 20, v5
	v_lshrrev_b32_e32 v55, 20, v4
	v_mul_lo_u16 v5, v53, 17
	s_barrier
	v_sub_nc_u16 v6, v98, v6
	v_mul_lo_u16 v4, v54, 17
	buffer_gl0_inv
	v_sub_nc_u16 v56, v51, v5
	v_mul_lo_u16 v5, v55, 17
	v_and_b32_e32 v57, 0xff, v6
	v_sub_nc_u16 v58, v41, v4
	v_mov_b32_e32 v25, 0xa0a1
	v_lshlrev_b16 v4, 1, v56
	v_sub_nc_u16 v59, v42, v5
	v_lshlrev_b32_e32 v6, 4, v57
	v_lshlrev_b16 v5, 1, v58
	v_lshlrev_b32_sdwa v100, v40, v98 dst_sel:DWORD dst_unused:UNUSED_PAD src0_sel:DWORD src1_sel:WORD_0
	v_lshlrev_b32_sdwa v4, v40, v4 dst_sel:DWORD dst_unused:UNUSED_PAD src0_sel:DWORD src1_sel:WORD_0
	v_mul_lo_u16 v28, 0xa1, v24
	global_load_dwordx4 v[16:19], v6, s[0:1]
	v_lshlrev_b32_sdwa v5, v40, v5 dst_sel:DWORD dst_unused:UNUSED_PAD src0_sel:DWORD src1_sel:WORD_0
	v_mul_u32_u24_sdwa v29, v51, v25 dst_sel:DWORD dst_unused:UNUSED_PAD src0_sel:WORD_0 src1_sel:DWORD
	global_load_dwordx4 v[12:15], v4, s[0:1]
	v_lshlrev_b16 v6, 1, v59
	v_mul_u32_u24_sdwa v30, v41, v25 dst_sel:DWORD dst_unused:UNUSED_PAD src0_sel:WORD_0 src1_sel:DWORD
	v_mul_u32_u24_sdwa v31, v42, v25 dst_sel:DWORD dst_unused:UNUSED_PAD src0_sel:WORD_0 src1_sel:DWORD
	v_add_nc_u32_e32 v115, 0x1000, v100
	v_add_nc_u32_e32 v113, 0x2400, v100
	v_lshlrev_b32_sdwa v4, v40, v6 dst_sel:DWORD dst_unused:UNUSED_PAD src0_sel:DWORD src1_sel:WORD_0
	s_clause 0x1
	global_load_dwordx4 v[8:11], v5, s[0:1]
	global_load_dwordx4 v[4:7], v4, s[0:1]
	v_add_nc_u32_e32 v116, 0x800, v100
	v_lshrrev_b16 v61, 13, v28
	v_lshrrev_b32_e32 v62, 21, v29
	v_lshrrev_b32_e32 v63, 21, v30
	;; [unrolled: 1-line block ×3, first 2 shown]
	v_add_nc_u32_e32 v117, 0x1c00, v100
	v_add_nc_u32_e32 v114, 0x2e00, v100
	ds_read2_b64 v[24:27], v100 offset1:153
	ds_read2_b64 v[28:31], v115 offset0:100 offset1:253
	ds_read2_b64 v[32:35], v113 offset0:72 offset1:225
	;; [unrolled: 1-line block ×5, first 2 shown]
	v_mov_b32_e32 v60, 51
	v_mul_lo_u16 v65, v61, 51
	v_mul_lo_u16 v66, v62, 51
	;; [unrolled: 1-line block ×4, first 2 shown]
	v_mul_u32_u24_sdwa v52, v52, v60 dst_sel:DWORD dst_unused:UNUSED_PAD src0_sel:WORD_0 src1_sel:DWORD
	v_sub_nc_u16 v60, v98, v65
	v_sub_nc_u16 v65, v51, v66
	;; [unrolled: 1-line block ×4, first 2 shown]
	v_mad_u16 v51, v53, 51, v56
	v_mad_u16 v53, v54, 51, v58
	;; [unrolled: 1-line block ×3, first 2 shown]
	v_lshlrev_b16 v55, 4, v65
	v_lshlrev_b16 v56, 4, v66
	;; [unrolled: 1-line block ×3, first 2 shown]
	v_and_b32_e32 v59, 0xff, v60
	v_add_lshl_u32 v105, v52, v57, 3
	v_lshlrev_b32_sdwa v104, v40, v51 dst_sel:DWORD dst_unused:UNUSED_PAD src0_sel:DWORD src1_sel:WORD_0
	v_lshlrev_b32_sdwa v102, v40, v54 dst_sel:DWORD dst_unused:UNUSED_PAD src0_sel:DWORD src1_sel:WORD_0
	v_and_b32_e32 v51, 0xffff, v55
	v_and_b32_e32 v54, 0xffff, v56
	;; [unrolled: 1-line block ×3, first 2 shown]
	v_lshlrev_b32_sdwa v103, v40, v53 dst_sel:DWORD dst_unused:UNUSED_PAD src0_sel:DWORD src1_sel:WORD_0
	v_lshlrev_b32_e32 v53, 4, v59
	v_add_co_u32 v51, s2, s0, v51
	s_waitcnt vmcnt(0) lgkmcnt(0)
	s_barrier
	buffer_gl0_inv
	v_add_co_ci_u32_e64 v52, null, s1, 0, s2
	v_lshlrev_b32_e32 v99, 3, v98
	v_mul_f32_e32 v56, v29, v17
	v_mul_f32_e32 v57, v28, v17
	;; [unrolled: 1-line block ×8, first 2 shown]
	v_fma_f32 v28, v28, v16, -v56
	v_fmac_f32_e32 v57, v29, v16
	v_fma_f32 v29, v32, v18, -v58
	v_fmac_f32_e32 v60, v33, v18
	v_mul_f32_e32 v72, v44, v9
	v_mul_f32_e32 v73, v43, v9
	;; [unrolled: 1-line block ×8, first 2 shown]
	v_fma_f32 v30, v30, v12, -v68
	v_fmac_f32_e32 v69, v31, v12
	v_fma_f32 v31, v34, v14, -v70
	v_fmac_f32_e32 v71, v35, v14
	;; [unrolled: 2-line block ×6, first 2 shown]
	v_add_f32_e32 v44, v28, v29
	v_add_f32_e32 v47, v57, v60
	;; [unrolled: 1-line block ×6, first 2 shown]
	v_sub_f32_e32 v72, v73, v75
	v_add_f32_e32 v74, v37, v73
	v_add_f32_e32 v73, v73, v75
	v_sub_f32_e32 v45, v57, v60
	v_add_f32_e32 v46, v25, v57
	v_sub_f32_e32 v48, v28, v29
	v_add_f32_e32 v78, v38, v34
	v_add_f32_e32 v83, v34, v43
	v_sub_f32_e32 v84, v77, v79
	v_add_f32_e32 v85, v39, v77
	v_add_f32_e32 v77, v77, v79
	v_fma_f32 v24, -0.5, v44, v24
	v_fma_f32 v25, -0.5, v47, v25
	v_add_f32_e32 v49, v26, v30
	v_sub_f32_e32 v56, v69, v71
	v_add_f32_e32 v57, v27, v69
	v_sub_f32_e32 v68, v30, v31
	v_fma_f32 v26, -0.5, v50, v26
	v_fmac_f32_e32 v27, -0.5, v58
	v_add_f32_e32 v69, v36, v32
	v_sub_f32_e32 v76, v32, v33
	v_sub_f32_e32 v86, v34, v43
	v_add_f32_e32 v28, v35, v29
	v_fma_f32 v34, -0.5, v70, v36
	v_fma_f32 v35, -0.5, v73, v37
	v_add_f32_e32 v29, v46, v60
	v_add_f32_e32 v36, v78, v43
	v_fma_f32 v38, -0.5, v83, v38
	v_fmac_f32_e32 v39, -0.5, v77
	v_fmamk_f32 v43, v45, 0x3f5db3d7, v24
	v_fmamk_f32 v44, v48, 0xbf5db3d7, v25
	v_fmac_f32_e32 v24, 0xbf5db3d7, v45
	v_fmac_f32_e32 v25, 0x3f5db3d7, v48
	v_add_f32_e32 v30, v49, v31
	v_add_f32_e32 v31, v57, v71
	v_fmamk_f32 v45, v56, 0x3f5db3d7, v26
	v_fmamk_f32 v46, v68, 0xbf5db3d7, v27
	v_fmac_f32_e32 v26, 0xbf5db3d7, v56
	v_fmac_f32_e32 v27, 0x3f5db3d7, v68
	v_add_f32_e32 v32, v69, v33
	v_add_f32_e32 v33, v74, v75
	v_fmamk_f32 v47, v72, 0x3f5db3d7, v34
	v_fmamk_f32 v48, v76, 0xbf5db3d7, v35
	v_add_f32_e32 v37, v85, v79
	v_fmac_f32_e32 v34, 0xbf5db3d7, v72
	v_fmac_f32_e32 v35, 0x3f5db3d7, v76
	v_fmamk_f32 v49, v84, 0x3f5db3d7, v38
	v_fmac_f32_e32 v38, 0xbf5db3d7, v84
	v_fmamk_f32 v50, v86, 0xbf5db3d7, v39
	v_fmac_f32_e32 v39, 0x3f5db3d7, v86
	ds_write2_b64 v105, v[28:29], v[43:44] offset1:17
	ds_write_b64 v105, v[24:25] offset:272
	ds_write2_b64 v104, v[30:31], v[45:46] offset1:17
	ds_write_b64 v104, v[26:27] offset:272
	;; [unrolled: 2-line block ×4, first 2 shown]
	v_add_co_u32 v24, s2, s0, v54
	v_add_co_ci_u32_e64 v25, null, s1, 0, s2
	v_add_co_u32 v26, s2, s0, v55
	s_waitcnt lgkmcnt(0)
	s_barrier
	buffer_gl0_inv
	s_clause 0x1
	global_load_dwordx4 v[36:39], v53, s[0:1] offset:272
	global_load_dwordx4 v[32:35], v[51:52], off offset:272
	v_add_co_ci_u32_e64 v27, null, s1, 0, s2
	s_clause 0x1
	global_load_dwordx4 v[28:31], v[24:25], off offset:272
	global_load_dwordx4 v[24:27], v[26:27], off offset:272
	v_mov_b32_e32 v43, 0x358b
	v_add_nc_u32_e32 v51, 0x264, v98
	v_add_nc_u32_e32 v52, 0x2fd, v98
	v_mov_b32_e32 v45, 0x99
	ds_read2_b64 v[55:58], v114 offset0:58 offset1:211
	v_mul_u32_u24_sdwa v44, v41, v43 dst_sel:DWORD dst_unused:UNUSED_PAD src0_sel:WORD_0 src1_sel:DWORD
	v_mul_u32_u24_sdwa v46, v42, v43 dst_sel:DWORD dst_unused:UNUSED_PAD src0_sel:WORD_0 src1_sel:DWORD
	;; [unrolled: 1-line block ×5, first 2 shown]
	v_lshrrev_b32_e32 v44, 21, v44
	v_lshrrev_b32_e32 v46, 21, v46
	;; [unrolled: 1-line block ×4, first 2 shown]
	v_mad_u16 v61, 0x99, v63, v66
	v_mul_lo_u16 v44, 0x99, v44
	v_mul_lo_u16 v48, 0x99, v46
	v_mul_lo_u16 v53, 0x99, v47
	v_mul_lo_u16 v54, 0x99, v43
	v_add_lshl_u32 v112, v60, v59, 3
	v_sub_nc_u16 v41, v41, v44
	ds_read2_b64 v[43:46], v115 offset0:100 offset1:253
	v_sub_nc_u16 v68, v42, v48
	ds_read2_b64 v[47:50], v113 offset0:72 offset1:225
	v_sub_nc_u16 v69, v51, v53
	v_sub_nc_u16 v70, v52, v54
	ds_read2_b64 v[51:54], v117 offset0:22 offset1:175
	v_mad_u16 v42, 0x99, v62, v65
	v_mad_u16 v62, 0x99, v64, v67
	v_lshlrev_b32_sdwa v110, v40, v61 dst_sel:DWORD dst_unused:UNUSED_PAD src0_sel:DWORD src1_sel:WORD_0
	v_lshlrev_b32_sdwa v101, v40, v41 dst_sel:DWORD dst_unused:UNUSED_PAD src0_sel:DWORD src1_sel:WORD_0
	;; [unrolled: 1-line block ×5, first 2 shown]
	ds_read2_b64 v[59:62], v100 offset1:153
	ds_read2_b64 v[63:66], v116 offset0:50 offset1:203
	s_waitcnt vmcnt(0) lgkmcnt(0)
	s_barrier
	buffer_gl0_inv
	v_lshlrev_b32_sdwa v107, v40, v69 dst_sel:DWORD dst_unused:UNUSED_PAD src0_sel:DWORD src1_sel:WORD_0
	v_lshlrev_b32_sdwa v106, v40, v70 dst_sel:DWORD dst_unused:UNUSED_PAD src0_sel:DWORD src1_sel:WORD_0
	v_add_nc_u32_e32 v70, 0x1000, v101
	v_mul_f32_e32 v41, v44, v37
	v_mul_f32_e32 v42, v43, v37
	;; [unrolled: 1-line block ×16, first 2 shown]
	v_fma_f32 v41, v43, v36, -v41
	v_fmac_f32_e32 v42, v44, v36
	v_fma_f32 v43, v47, v38, -v67
	v_fmac_f32_e32 v71, v48, v38
	;; [unrolled: 2-line block ×8, first 2 shown]
	v_add_f32_e32 v49, v59, v41
	v_add_f32_e32 v50, v41, v43
	;; [unrolled: 1-line block ×6, first 2 shown]
	v_sub_f32_e32 v78, v77, v79
	v_add_f32_e32 v83, v64, v77
	v_add_f32_e32 v77, v77, v79
	v_sub_f32_e32 v54, v42, v71
	v_add_f32_e32 v52, v60, v42
	v_sub_f32_e32 v55, v41, v43
	;; [unrolled: 2-line block ×5, first 2 shown]
	v_add_f32_e32 v90, v66, v84
	v_add_f32_e32 v84, v84, v86
	;; [unrolled: 1-line block ×3, first 2 shown]
	v_fma_f32 v43, -0.5, v50, v59
	v_fma_f32 v44, -0.5, v53, v60
	;; [unrolled: 1-line block ×3, first 2 shown]
	v_fmac_f32_e32 v62, -0.5, v72
	v_add_f32_e32 v74, v63, v46
	v_sub_f32_e32 v85, v46, v47
	v_fma_f32 v49, -0.5, v76, v63
	v_fma_f32 v50, -0.5, v77, v64
	v_add_f32_e32 v87, v65, v48
	v_sub_f32_e32 v91, v48, v51
	v_add_f32_e32 v42, v52, v71
	v_fma_f32 v65, -0.5, v88, v65
	v_fmac_f32_e32 v66, -0.5, v84
	v_fmamk_f32 v53, v54, 0x3f5db3d7, v43
	v_fmac_f32_e32 v43, 0xbf5db3d7, v54
	v_fmamk_f32 v54, v55, 0xbf5db3d7, v44
	v_fmac_f32_e32 v44, 0x3f5db3d7, v55
	v_add_f32_e32 v45, v56, v45
	v_add_f32_e32 v46, v67, v75
	v_fmamk_f32 v55, v58, 0x3f5db3d7, v61
	v_fmamk_f32 v56, v73, 0xbf5db3d7, v62
	v_fmac_f32_e32 v61, 0xbf5db3d7, v58
	v_fmac_f32_e32 v62, 0x3f5db3d7, v73
	v_add_f32_e32 v47, v74, v47
	v_add_f32_e32 v48, v83, v79
	v_fmamk_f32 v57, v78, 0x3f5db3d7, v49
	v_fmamk_f32 v58, v85, 0xbf5db3d7, v50
	v_add_f32_e32 v51, v87, v51
	v_add_f32_e32 v52, v90, v86
	v_fmac_f32_e32 v49, 0xbf5db3d7, v78
	v_fmac_f32_e32 v50, 0x3f5db3d7, v85
	v_fmamk_f32 v59, v89, 0x3f5db3d7, v65
	v_fmac_f32_e32 v65, 0xbf5db3d7, v89
	v_fmamk_f32 v60, v91, 0xbf5db3d7, v66
	v_fmac_f32_e32 v66, 0x3f5db3d7, v91
	ds_write2_b64 v112, v[41:42], v[53:54] offset1:51
	ds_write_b64 v112, v[43:44] offset:816
	ds_write2_b64 v111, v[45:46], v[55:56] offset1:51
	ds_write_b64 v111, v[61:62] offset:816
	;; [unrolled: 2-line block ×4, first 2 shown]
	s_waitcnt lgkmcnt(0)
	s_barrier
	buffer_gl0_inv
	s_clause 0x4
	global_load_dwordx2 v[91:92], v99, s[0:1] offset:1088
	global_load_dwordx2 v[87:88], v101, s[0:1] offset:1088
	;; [unrolled: 1-line block ×5, first 2 shown]
	ds_read2_b64 v[40:43], v117 offset0:22 offset1:175
	ds_read2_b64 v[44:47], v113 offset0:72 offset1:225
	;; [unrolled: 1-line block ×3, first 2 shown]
	ds_read2_b64 v[52:55], v100 offset1:153
	ds_read2_b64 v[56:59], v116 offset0:50 offset1:203
	ds_read2_b64 v[60:63], v115 offset0:100 offset1:253
	v_mad_u64_u32 v[64:65], null, v98, 40, s[0:1]
	v_add_nc_u32_e32 v71, 0x1c00, v108
	v_add_nc_u32_e32 v72, 0x2400, v107
	;; [unrolled: 1-line block ×3, first 2 shown]
	s_waitcnt vmcnt(0) lgkmcnt(0)
	s_barrier
	buffer_gl0_inv
	v_add_co_u32 v66, s0, 0x908, v64
	v_add_co_ci_u32_e64 v67, s0, 0, v65, s0
	v_add_co_u32 v68, s0, 0x800, v64
	v_add_co_ci_u32_e64 v69, s0, 0, v65, s0
	v_mul_f32_e32 v93, v47, v90
	v_mul_f32_e32 v74, v41, v92
	;; [unrolled: 1-line block ×12, first 2 shown]
	v_fma_f32 v40, v40, v91, -v74
	v_fmac_f32_e32 v75, v41, v91
	v_fma_f32 v42, v42, v91, -v76
	v_fmac_f32_e32 v77, v43, v91
	;; [unrolled: 2-line block ×6, first 2 shown]
	v_sub_f32_e32 v40, v52, v40
	v_sub_f32_e32 v41, v53, v75
	;; [unrolled: 1-line block ×12, first 2 shown]
	v_fma_f32 v52, v52, 2.0, -v40
	v_fma_f32 v53, v53, 2.0, -v41
	v_fma_f32 v54, v54, 2.0, -v42
	v_fma_f32 v55, v55, 2.0, -v43
	v_fma_f32 v56, v56, 2.0, -v44
	v_fma_f32 v57, v57, 2.0, -v45
	v_fma_f32 v58, v58, 2.0, -v46
	v_fma_f32 v59, v59, 2.0, -v47
	v_fma_f32 v60, v60, 2.0, -v48
	v_fma_f32 v61, v61, 2.0, -v49
	v_fma_f32 v62, v62, 2.0, -v50
	v_fma_f32 v63, v63, 2.0, -v51
	ds_write2_b64 v100, v[52:53], v[40:41] offset1:153
	ds_write2_b64 v116, v[54:55], v[42:43] offset0:50 offset1:203
	ds_write2_b64 v70, v[56:57], v[44:45] offset0:100 offset1:253
	;; [unrolled: 1-line block ×5, first 2 shown]
	v_add_co_u32 v44, s0, 0x2000, v64
	v_add_co_ci_u32_e64 v45, s0, 0, v65, s0
	v_add_co_u32 v56, s0, 0x20f0, v64
	v_add_co_ci_u32_e64 v57, s0, 0, v65, s0
	s_waitcnt lgkmcnt(0)
	s_barrier
	buffer_gl0_inv
	s_clause 0x5
	global_load_dwordx4 v[48:51], v[68:69], off offset:264
	global_load_dwordx2 v[93:94], v[66:67], off offset:32
	global_load_dwordx4 v[40:43], v[66:67], off offset:16
	global_load_dwordx4 v[52:55], v[44:45], off offset:240
	;; [unrolled: 1-line block ×3, first 2 shown]
	global_load_dwordx2 v[95:96], v[56:57], off offset:32
	ds_read2_b64 v[56:59], v116 offset0:50 offset1:203
	ds_read2_b64 v[60:63], v115 offset0:100 offset1:253
	;; [unrolled: 1-line block ×5, first 2 shown]
	ds_read2_b64 v[76:79], v100 offset1:153
	s_waitcnt vmcnt(5) lgkmcnt(5)
	v_mul_f32_e32 v118, v57, v49
	v_mul_f32_e32 v119, v56, v49
	s_waitcnt lgkmcnt(4)
	v_mul_f32_e32 v120, v61, v51
	v_mul_f32_e32 v121, v60, v51
	s_waitcnt vmcnt(3) lgkmcnt(3)
	v_mul_f32_e32 v122, v65, v41
	v_mul_f32_e32 v123, v64, v41
	s_waitcnt lgkmcnt(2)
	v_mul_f32_e32 v125, v68, v43
	s_waitcnt lgkmcnt(1)
	v_mul_f32_e32 v126, v73, v94
	v_mul_f32_e32 v127, v72, v94
	s_waitcnt vmcnt(2)
	v_mul_f32_e32 v129, v58, v53
	v_mul_f32_e32 v130, v63, v55
	;; [unrolled: 1-line block ×3, first 2 shown]
	s_waitcnt vmcnt(1)
	v_mul_f32_e32 v132, v67, v45
	v_mul_f32_e32 v133, v66, v45
	;; [unrolled: 1-line block ×4, first 2 shown]
	s_waitcnt vmcnt(0)
	v_mul_f32_e32 v136, v75, v96
	v_mul_f32_e32 v137, v74, v96
	;; [unrolled: 1-line block ×4, first 2 shown]
	v_fma_f32 v118, v56, v48, -v118
	v_fmac_f32_e32 v119, v57, v48
	v_fma_f32 v56, v60, v50, -v120
	v_fmac_f32_e32 v121, v61, v50
	;; [unrolled: 2-line block ×3, first 2 shown]
	v_fmac_f32_e32 v125, v69, v42
	v_fma_f32 v61, v72, v93, -v126
	v_fmac_f32_e32 v127, v73, v93
	v_fmac_f32_e32 v129, v59, v52
	v_fma_f32 v59, v62, v54, -v130
	v_fmac_f32_e32 v131, v63, v54
	v_fma_f32 v62, v66, v44, -v132
	;; [unrolled: 2-line block ×5, first 2 shown]
	v_fma_f32 v58, v58, v52, -v128
	s_waitcnt lgkmcnt(0)
	v_add_f32_e32 v65, v76, v56
	v_sub_f32_e32 v67, v121, v125
	v_add_f32_e32 v68, v77, v121
	v_add_f32_e32 v69, v121, v125
	;; [unrolled: 1-line block ×4, first 2 shown]
	v_sub_f32_e32 v72, v123, v127
	v_add_f32_e32 v73, v119, v123
	v_add_f32_e32 v74, v123, v127
	v_add_f32_e32 v120, v59, v63
	v_sub_f32_e32 v121, v131, v135
	v_add_f32_e32 v122, v79, v131
	v_add_f32_e32 v123, v131, v135
	v_add_f32_e32 v126, v62, v64
	v_add_f32_e32 v131, v133, v137
	v_add_f32_e32 v66, v56, v60
	v_sub_f32_e32 v56, v56, v60
	v_sub_f32_e32 v57, v57, v61
	v_add_f32_e32 v75, v78, v59
	v_sub_f32_e32 v59, v59, v63
	v_add_f32_e32 v124, v58, v62
	;; [unrolled: 2-line block ×4, first 2 shown]
	v_fma_f32 v77, -0.5, v69, v77
	v_add_f32_e32 v61, v70, v61
	v_fmac_f32_e32 v118, -0.5, v71
	v_fmac_f32_e32 v119, -0.5, v74
	v_fma_f32 v78, -0.5, v120, v78
	v_fmac_f32_e32 v79, -0.5, v123
	v_fmac_f32_e32 v58, -0.5, v126
	;; [unrolled: 1-line block ×3, first 2 shown]
	v_fma_f32 v76, -0.5, v66, v76
	v_add_f32_e32 v63, v75, v63
	v_add_f32_e32 v69, v122, v135
	v_add_f32_e32 v64, v124, v64
	v_add_f32_e32 v70, v130, v137
	v_fmamk_f32 v74, v56, 0xbf5db3d7, v77
	v_fmac_f32_e32 v77, 0x3f5db3d7, v56
	v_fmamk_f32 v75, v72, 0x3f5db3d7, v118
	v_fmac_f32_e32 v118, 0xbf5db3d7, v72
	;; [unrolled: 2-line block ×3, first 2 shown]
	v_add_f32_e32 v56, v60, v61
	v_sub_f32_e32 v66, v60, v61
	v_fmamk_f32 v122, v121, 0x3f5db3d7, v78
	v_fmac_f32_e32 v78, 0xbf5db3d7, v121
	v_fmamk_f32 v121, v59, 0xbf5db3d7, v79
	v_fmac_f32_e32 v79, 0x3f5db3d7, v59
	;; [unrolled: 2-line block ×4, first 2 shown]
	v_add_f32_e32 v65, v68, v125
	v_add_f32_e32 v68, v73, v127
	;; [unrolled: 1-line block ×4, first 2 shown]
	v_sub_f32_e32 v62, v63, v64
	v_sub_f32_e32 v63, v69, v70
	v_mul_f32_e32 v61, 0x3f5db3d7, v120
	v_mul_f32_e32 v69, -0.5, v118
	v_mul_f32_e32 v123, 0xbf5db3d7, v75
	v_mul_f32_e32 v124, -0.5, v119
	;; [unrolled: 2-line block ×4, first 2 shown]
	v_fmamk_f32 v71, v67, 0x3f5db3d7, v76
	v_fmac_f32_e32 v76, 0xbf5db3d7, v67
	v_fmac_f32_e32 v61, 0.5, v75
	v_fmac_f32_e32 v69, 0x3f5db3d7, v119
	v_fmac_f32_e32 v123, 0.5, v120
	v_fmac_f32_e32 v124, 0xbf5db3d7, v118
	v_fmac_f32_e32 v125, 0.5, v59
	v_fmac_f32_e32 v126, 0x3f5db3d7, v129
	v_fmac_f32_e32 v127, 0.5, v60
	v_fmac_f32_e32 v128, 0xbf5db3d7, v58
	v_add_f32_e32 v57, v65, v68
	v_sub_f32_e32 v67, v65, v68
	v_add_f32_e32 v58, v71, v61
	v_add_f32_e32 v64, v76, v69
	;; [unrolled: 1-line block ×4, first 2 shown]
	v_sub_f32_e32 v68, v71, v61
	v_sub_f32_e32 v70, v76, v69
	;; [unrolled: 1-line block ×4, first 2 shown]
	v_add_f32_e32 v74, v122, v125
	v_add_f32_e32 v60, v78, v126
	;; [unrolled: 1-line block ×4, first 2 shown]
	v_sub_f32_e32 v76, v122, v125
	v_sub_f32_e32 v78, v78, v126
	;; [unrolled: 1-line block ×4, first 2 shown]
	ds_write2_b64 v100, v[56:57], v[72:73] offset1:153
	ds_write2_b64 v117, v[66:67], v[62:63] offset0:22 offset1:175
	ds_write2_b64 v116, v[58:59], v[74:75] offset0:50 offset1:203
	;; [unrolled: 1-line block ×5, first 2 shown]
	s_waitcnt lgkmcnt(0)
	s_barrier
	buffer_gl0_inv
	s_and_saveexec_b32 s1, vcc_lo
	s_cbranch_execz .LBB0_9
; %bb.8:
	v_add_co_u32 v123, s0, s12, v97
	v_add_co_ci_u32_e64 v124, null, s13, 0, s0
	v_add_nc_u32_e32 v178, 0x800, v99
	v_add_co_u32 v113, s0, 0x3800, v123
	v_add_co_ci_u32_e64 v114, s0, 0, v124, s0
	v_add_co_u32 v115, s0, 0x3960, v123
	v_add_co_ci_u32_e64 v116, s0, 0, v124, s0
	global_load_dwordx2 v[113:114], v[113:114], off offset:352
	v_add_co_u32 v117, s0, 0x4000, v123
	v_add_co_ci_u32_e64 v118, s0, 0, v124, s0
	v_add_co_u32 v119, s0, 0x4800, v123
	v_add_co_ci_u32_e64 v120, s0, 0, v124, s0
	;; [unrolled: 2-line block ×3, first 2 shown]
	s_clause 0x2
	global_load_dwordx2 v[145:146], v[115:116], off offset:864
	global_load_dwordx2 v[147:148], v[117:118], off offset:896
	global_load_dwordx2 v[149:150], v[115:116], off offset:1728
	v_add_co_u32 v115, s0, 0x5800, v123
	v_add_co_ci_u32_e64 v116, s0, 0, v124, s0
	s_clause 0x3
	global_load_dwordx2 v[151:152], v[117:118], off offset:1760
	global_load_dwordx2 v[153:154], v[119:120], off offset:576
	global_load_dwordx2 v[155:156], v[119:120], off offset:1440
	global_load_dwordx2 v[157:158], v[121:122], off offset:256
	v_add_co_u32 v117, s0, 0x6000, v123
	v_add_co_ci_u32_e64 v118, s0, 0, v124, s0
	s_clause 0x3
	global_load_dwordx2 v[159:160], v[121:122], off offset:1120
	;; [unrolled: 7-line block ×3, first 2 shown]
	global_load_dwordx2 v[169:170], v[117:118], off offset:1344
	global_load_dwordx2 v[171:172], v[115:116], off offset:160
	;; [unrolled: 1-line block ×4, first 2 shown]
	ds_read_b64 v[115:116], v100
	v_add_nc_u32_e32 v179, 0x1000, v99
	v_add_nc_u32_e32 v180, 0x1400, v99
	;; [unrolled: 1-line block ×6, first 2 shown]
	s_waitcnt vmcnt(16) lgkmcnt(0)
	v_mul_f32_e32 v117, v116, v114
	v_mul_f32_e32 v118, v115, v114
	v_fma_f32 v117, v115, v113, -v117
	v_fmac_f32_e32 v118, v116, v113
	ds_write_b64 v100, v[117:118]
	ds_read2_b64 v[113:116], v99 offset0:108 offset1:216
	ds_read2_b64 v[117:120], v178 offset0:68 offset1:176
	;; [unrolled: 1-line block ×8, first 2 shown]
	s_waitcnt vmcnt(15) lgkmcnt(7)
	v_mul_f32_e32 v185, v114, v146
	v_mul_f32_e32 v177, v113, v146
	s_waitcnt vmcnt(13)
	v_mul_f32_e32 v186, v116, v150
	v_mul_f32_e32 v146, v115, v150
	s_waitcnt lgkmcnt(6)
	v_mul_f32_e32 v187, v118, v148
	v_mul_f32_e32 v150, v117, v148
	s_waitcnt vmcnt(12)
	v_mul_f32_e32 v188, v120, v152
	v_mul_f32_e32 v148, v119, v152
	s_waitcnt vmcnt(11) lgkmcnt(5)
	v_mul_f32_e32 v189, v122, v154
	v_mul_f32_e32 v152, v121, v154
	s_waitcnt vmcnt(10)
	v_mul_f32_e32 v190, v124, v156
	v_mul_f32_e32 v154, v123, v156
	s_waitcnt vmcnt(9) lgkmcnt(4)
	;; [unrolled: 6-line block ×6, first 2 shown]
	v_mul_f32_e32 v199, v142, v174
	v_mul_f32_e32 v172, v141, v174
	s_waitcnt vmcnt(0)
	v_mul_f32_e32 v200, v144, v176
	v_mul_f32_e32 v174, v143, v176
	v_fma_f32 v176, v113, v145, -v185
	v_fmac_f32_e32 v177, v114, v145
	v_fma_f32 v145, v115, v149, -v186
	v_fmac_f32_e32 v146, v116, v149
	;; [unrolled: 2-line block ×16, first 2 shown]
	ds_write2_b64 v99, v[176:177], v[145:146] offset0:108 offset1:216
	ds_write2_b64 v178, v[149:150], v[147:148] offset0:68 offset1:176
	;; [unrolled: 1-line block ×8, first 2 shown]
.LBB0_9:
	s_or_b32 exec_lo, exec_lo, s1
	s_waitcnt lgkmcnt(0)
	s_barrier
	buffer_gl0_inv
	s_and_saveexec_b32 s0, vcc_lo
	s_cbranch_execz .LBB0_11
; %bb.10:
	v_add_nc_u32_e32 v0, 0x400, v100
	v_add_nc_u32_e32 v1, 0xc00, v100
	v_add_nc_u32_e32 v2, 0x1000, v100
	ds_read2_b64 v[56:59], v100 offset1:108
	v_add_nc_u32_e32 v3, 0x2800, v100
	ds_read2_b64 v[64:67], v0 offset0:88 offset1:196
	ds_read2_b64 v[68:71], v1 offset0:48 offset1:156
	v_add_nc_u32_e32 v0, 0x1800, v100
	v_add_nc_u32_e32 v1, 0x2000, v100
	;; [unrolled: 1-line block ×3, first 2 shown]
	ds_read2_b64 v[72:75], v2 offset0:136 offset1:244
	ds_read2_b64 v[60:63], v0 offset0:96 offset1:204
	ds_read2_b64 v[76:79], v1 offset0:56 offset1:164
	ds_read2_b64 v[20:23], v3 offset0:16 offset1:124
	ds_read2_b64 v[0:3], v81 offset0:104 offset1:212
	ds_read_b64 v[81:82], v100 offset:13824
.LBB0_11:
	s_or_b32 exec_lo, exec_lo, s0
	s_waitcnt lgkmcnt(0)
	s_barrier
	buffer_gl0_inv
	s_and_saveexec_b32 s0, vcc_lo
	s_cbranch_execz .LBB0_13
; %bb.12:
	v_add_f32_e32 v113, v59, v57
	v_add_f32_e32 v114, v58, v56
	;; [unrolled: 1-line block ×3, first 2 shown]
	v_sub_f32_e32 v115, v64, v2
	v_add_f32_e32 v121, v23, v69
	v_add_f32_e32 v113, v65, v113
	;; [unrolled: 1-line block ×3, first 2 shown]
	v_sub_f32_e32 v116, v66, v0
	v_add_f32_e32 v120, v1, v67
	v_sub_f32_e32 v126, v58, v81
	v_add_f32_e32 v113, v67, v113
	v_add_f32_e32 v114, v66, v114
	;; [unrolled: 1-line block ×3, first 2 shown]
	v_sub_f32_e32 v117, v68, v22
	v_add_f32_e32 v122, v79, v73
	v_add_f32_e32 v118, v69, v113
	;; [unrolled: 1-line block ×3, first 2 shown]
	v_sub_f32_e32 v113, v70, v20
	v_sub_f32_e32 v114, v72, v78
	v_add_f32_e32 v68, v22, v68
	v_add_f32_e32 v124, v71, v118
	;; [unrolled: 1-line block ×3, first 2 shown]
	v_sub_f32_e32 v123, v65, v3
	v_add_f32_e32 v118, v2, v64
	v_sub_f32_e32 v64, v74, v76
	v_add_f32_e32 v65, v73, v124
	v_add_f32_e32 v128, v72, v125
	v_sub_f32_e32 v124, v67, v1
	v_add_f32_e32 v67, v0, v66
	v_add_f32_e32 v125, v77, v75
	;; [unrolled: 1-line block ×5, first 2 shown]
	v_sub_f32_e32 v72, v75, v77
	v_add_f32_e32 v75, v21, v71
	v_add_f32_e32 v129, v61, v65
	;; [unrolled: 1-line block ×4, first 2 shown]
	v_sub_f32_e32 v74, v69, v23
	v_add_f32_e32 v69, v20, v70
	v_add_f32_e32 v129, v63, v129
	v_add_f32_e32 v128, v62, v128
	v_sub_f32_e32 v71, v71, v21
	v_sub_f32_e32 v73, v73, v79
	v_mul_f32_e32 v130, 0x3ee437d1, v127
	v_add_f32_e32 v70, v77, v129
	v_add_f32_e32 v76, v76, v128
	v_mul_f32_e32 v77, 0xbf06c442, v126
	v_mul_f32_e32 v129, 0xbf1a4643, v127
	;; [unrolled: 1-line block ×3, first 2 shown]
	v_add_f32_e32 v70, v79, v70
	v_add_f32_e32 v76, v78, v76
	v_mul_f32_e32 v78, 0xbe8c1d8e, v127
	v_mul_f32_e32 v79, 0x3dbcf732, v127
	v_add_f32_e32 v58, v81, v58
	v_add_f32_e32 v21, v21, v70
	;; [unrolled: 1-line block ×3, first 2 shown]
	v_mul_f32_e32 v70, 0x3f3d2fb0, v127
	v_fmamk_f32 v76, v127, 0xbf59a7d5, v77
	v_fmamk_f32 v131, v126, 0x3e3c28d5, v128
	v_add_f32_e32 v21, v23, v21
	v_add_f32_e32 v20, v22, v20
	v_fma_f32 v22, 0xbf59a7d5, v127, -v77
	v_fmamk_f32 v23, v126, 0x3f4c4adb, v129
	v_fmamk_f32 v77, v126, 0x3f763a35, v78
	v_add_f32_e32 v1, v1, v21
	v_add_f32_e32 v0, v0, v20
	v_fmamk_f32 v20, v126, 0x3f7ee86f, v79
	v_fmamk_f32 v21, v126, 0x3f65296c, v130
	;; [unrolled: 1-line block ×3, first 2 shown]
	v_add_f32_e32 v1, v3, v1
	v_sub_f32_e32 v3, v59, v82
	v_add_f32_e32 v0, v2, v0
	v_mul_f32_e32 v2, 0x3f6eb680, v127
	v_fmac_f32_e32 v128, 0xbe3c28d5, v126
	v_fmac_f32_e32 v129, 0xbf4c4adb, v126
	v_mul_f32_e32 v59, 0xbf06c442, v3
	v_mul_f32_e32 v138, 0xbf2c7751, v3
	v_fmac_f32_e32 v78, 0xbf763a35, v126
	v_fmac_f32_e32 v79, 0xbf7ee86f, v126
	;; [unrolled: 1-line block ×4, first 2 shown]
	v_fmamk_f32 v127, v126, 0x3eb8f4ab, v2
	v_fmac_f32_e32 v2, 0xbeb8f4ab, v126
	v_fma_f32 v126, 0xbf59a7d5, v58, -v59
	v_fmac_f32_e32 v59, 0xbf59a7d5, v58
	v_mul_f32_e32 v133, 0xbe3c28d5, v3
	v_mul_f32_e32 v134, 0xbf4c4adb, v3
	;; [unrolled: 1-line block ×6, first 2 shown]
	v_fmamk_f32 v144, v58, 0x3f3d2fb0, v138
	v_fma_f32 v138, 0x3f3d2fb0, v58, -v138
	v_add_f32_e32 v146, v57, v22
	v_add_f32_e32 v148, v57, v23
	v_sub_f32_e32 v22, v60, v62
	v_add_f32_e32 v23, v62, v60
	v_mul_f32_e32 v60, 0x3f65296c, v115
	v_fmamk_f32 v139, v58, 0xbf7ba420, v133
	v_fma_f32 v133, 0xbf7ba420, v58, -v133
	v_fmamk_f32 v140, v58, 0xbf1a4643, v134
	v_fma_f32 v134, 0xbf1a4643, v58, -v134
	v_fmamk_f32 v141, v58, 0xbe8c1d8e, v135
	v_fma_f32 v135, 0xbe8c1d8e, v58, -v135
	v_fmamk_f32 v142, v58, 0x3dbcf732, v136
	v_fma_f32 v136, 0x3dbcf732, v58, -v136
	v_fmamk_f32 v143, v58, 0x3ee437d1, v137
	v_fma_f32 v137, 0x3ee437d1, v58, -v137
	v_fmamk_f32 v145, v58, 0x3f6eb680, v3
	v_fma_f32 v3, 0x3f6eb680, v58, -v3
	v_add_f32_e32 v76, v57, v76
	v_add_f32_e32 v131, v57, v131
	;; [unrolled: 1-line block ×17, first 2 shown]
	v_sub_f32_e32 v138, v61, v63
	v_fmamk_f32 v2, v119, 0x3ee437d1, v60
	v_mul_f32_e32 v61, 0xbf7ee86f, v116
	v_add_f32_e32 v126, v56, v126
	v_add_f32_e32 v139, v56, v139
	;; [unrolled: 1-line block ×15, first 2 shown]
	v_fmamk_f32 v3, v120, 0x3dbcf732, v61
	v_mul_f32_e32 v62, 0x3f4c4adb, v117
	v_mul_f32_e32 v63, 0xbeb8f4ab, v113
	;; [unrolled: 1-line block ×4, first 2 shown]
	v_add_f32_e32 v2, v3, v2
	v_fmamk_f32 v3, v121, 0xbf1a4643, v62
	v_mul_f32_e32 v79, 0xbf7ee86f, v124
	v_add_f32_e32 v0, v81, v0
	v_mul_f32_e32 v81, 0x3f2c7751, v64
	v_add_f32_e32 v1, v82, v1
	v_add_f32_e32 v2, v3, v2
	v_fmamk_f32 v3, v75, 0x3f6eb680, v63
	v_fma_f32 v20, 0x3dbcf732, v67, -v79
	v_mul_f32_e32 v82, 0x3f4c4adb, v74
	v_mul_f32_e32 v127, 0xbe3c28d5, v73
	v_mul_f32_e32 v154, 0x3f2c7751, v72
	v_add_f32_e32 v2, v3, v2
	v_fmamk_f32 v3, v122, 0xbf7ba420, v76
	v_mul_f32_e32 v155, 0xbf763a35, v22
	v_mul_f32_e32 v156, 0xbf763a35, v138
	;; [unrolled: 1-line block ×4, first 2 shown]
	v_add_f32_e32 v2, v3, v2
	v_fma_f32 v3, 0x3ee437d1, v118, -v78
	v_mul_f32_e32 v159, 0xbf1a4643, v75
	v_mul_f32_e32 v160, 0x3eb8f4ab, v123
	v_fma_f32 v60, 0x3ee437d1, v119, -v60
	v_fma_f32 v61, 0x3dbcf732, v120, -v61
	v_add_f32_e32 v3, v3, v126
	v_mul_f32_e32 v126, 0xbeb8f4ab, v71
	v_fmac_f32_e32 v78, 0x3ee437d1, v118
	v_add_f32_e32 v60, v60, v146
	v_fmac_f32_e32 v79, 0x3dbcf732, v67
	v_add_f32_e32 v3, v20, v3
	v_fmamk_f32 v20, v125, 0x3f3d2fb0, v81
	v_mul_f32_e32 v146, 0xbe8c1d8e, v119
	v_add_f32_e32 v60, v61, v60
	v_fma_f32 v61, 0xbf1a4643, v121, -v62
	v_fma_f32 v62, 0x3f6eb680, v75, -v63
	v_add_f32_e32 v2, v20, v2
	v_fma_f32 v20, 0xbf1a4643, v68, -v82
	v_fmac_f32_e32 v82, 0xbf1a4643, v68
	v_add_f32_e32 v60, v61, v60
	v_add_f32_e32 v61, v78, v147
	v_mul_f32_e32 v147, 0x3f6eb680, v120
	v_add_f32_e32 v3, v20, v3
	v_fma_f32 v20, 0x3f6eb680, v69, -v126
	v_fmac_f32_e32 v126, 0x3f6eb680, v69
	v_add_f32_e32 v61, v79, v61
	v_add_f32_e32 v60, v62, v60
	v_fma_f32 v62, 0xbf7ba420, v122, -v76
	v_add_f32_e32 v3, v20, v3
	v_fma_f32 v20, 0xbf7ba420, v66, -v127
	v_add_f32_e32 v61, v82, v61
	v_fmac_f32_e32 v127, 0xbf7ba420, v66
	v_add_f32_e32 v60, v62, v60
	v_fma_f32 v62, 0x3f3d2fb0, v125, -v81
	v_add_f32_e32 v3, v20, v3
	v_fma_f32 v20, 0x3f3d2fb0, v65, -v154
	v_add_f32_e32 v61, v126, v61
	v_fmac_f32_e32 v154, 0x3f3d2fb0, v65
	v_add_f32_e32 v60, v62, v60
	v_fmamk_f32 v63, v116, 0x3eb8f4ab, v147
	v_add_f32_e32 v20, v20, v3
	v_fmamk_f32 v3, v70, 0xbe8c1d8e, v155
	v_add_f32_e32 v61, v127, v61
	v_mul_f32_e32 v168, 0x3dbcf732, v70
	v_mul_f32_e32 v169, 0x3f7ee86f, v138
	;; [unrolled: 1-line block ×3, first 2 shown]
	v_add_f32_e32 v3, v3, v2
	v_fma_f32 v2, 0xbe8c1d8e, v23, -v156
	v_add_f32_e32 v62, v154, v61
	v_fma_f32 v61, 0xbe8c1d8e, v70, -v155
	v_fmac_f32_e32 v156, 0xbe8c1d8e, v23
	v_mul_f32_e32 v154, 0x3dbcf732, v75
	v_add_f32_e32 v2, v2, v20
	v_fmamk_f32 v20, v115, 0xbeb8f4ab, v157
	v_add_f32_e32 v61, v61, v60
	v_add_f32_e32 v60, v156, v62
	v_fmamk_f32 v62, v115, 0xbf763a35, v146
	v_mul_f32_e32 v155, 0x3f3d2fb0, v122
	v_add_f32_e32 v20, v20, v131
	v_mul_f32_e32 v131, 0xbf59a7d5, v120
	v_mul_f32_e32 v156, 0x3f763a35, v123
	v_add_f32_e32 v62, v62, v148
	v_mul_f32_e32 v148, 0xbf59a7d5, v121
	v_mul_f32_e32 v171, 0x3f7ee86f, v71
	v_fmamk_f32 v21, v116, 0x3f06c442, v131
	v_mul_f32_e32 v172, 0xbf2c7751, v73
	v_add_f32_e32 v62, v63, v62
	v_fmamk_f32 v63, v117, 0x3f06c442, v148
	v_mul_f32_e32 v173, 0xbe3c28d5, v72
	v_add_f32_e32 v20, v21, v20
	;; [unrolled: 3-line block ×8, first 2 shown]
	v_mul_f32_e32 v139, 0x3ee437d1, v122
	v_mul_f32_e32 v180, 0x3dbcf732, v122
	v_add_f32_e32 v63, v63, v140
	v_mul_f32_e32 v140, 0xbf7ba420, v125
	v_mul_f32_e32 v181, 0x3f06c442, v123
	v_fmamk_f32 v161, v114, 0xbf65296c, v139
	v_mul_f32_e32 v182, 0x3f2c7751, v124
	v_mul_f32_e32 v183, 0xbf65296c, v74
	v_fmamk_f32 v76, v64, 0x3e3c28d5, v140
	v_mul_f32_e32 v184, 0xbe3c28d5, v71
	v_add_f32_e32 v20, v161, v20
	v_mul_f32_e32 v161, 0xbf06c442, v124
	v_mul_f32_e32 v185, 0x3f7ee86f, v73
	v_add_f32_e32 v62, v76, v62
	v_mul_f32_e32 v186, 0xbeb8f4ab, v72
	v_mul_f32_e32 v187, 0xbf1a4643, v70
	v_fmamk_f32 v162, v67, 0xbf59a7d5, v161
	v_mul_f32_e32 v188, 0xbf4c4adb, v138
	v_mul_f32_e32 v189, 0xbf7ba420, v119
	v_mul_f32_e32 v190, 0x3f6eb680, v121
	v_mul_f32_e32 v191, 0x3ee437d1, v75
	v_add_f32_e32 v21, v162, v21
	v_mul_f32_e32 v162, 0x3f2c7751, v74
	v_mul_f32_e32 v192, 0xbf59a7d5, v122
	v_mul_f32_e32 v193, 0xbe3c28d5, v123
	v_mul_f32_e32 v194, 0x3f763a35, v124
	v_mul_f32_e32 v195, 0x3eb8f4ab, v74
	v_fmamk_f32 v163, v68, 0x3f3d2fb0, v162
	v_mul_f32_e32 v196, 0xbf65296c, v71
	v_mul_f32_e32 v197, 0xbf06c442, v73
	v_mul_f32_e32 v198, 0x3f4c4adb, v72
	v_mul_f32_e32 v199, 0x3f3d2fb0, v70
	v_add_f32_e32 v21, v163, v21
	v_mul_f32_e32 v163, 0xbe8c1d8e, v125
	v_mul_f32_e32 v200, 0x3f2c7751, v138
	v_mul_f32_e32 v201, 0xbf1a4643, v119
	;; [unrolled: 11-line block ×4, first 2 shown]
	v_mul_f32_e32 v224, 0x3f6eb680, v70
	v_mul_f32_e32 v225, 0x3eb8f4ab, v138
	v_fmamk_f32 v166, v66, 0x3ee437d1, v165
	v_mul_f32_e32 v226, 0x3dbcf732, v121
	v_mul_f32_e32 v227, 0xbe8c1d8e, v75
	;; [unrolled: 1-line block ×4, first 2 shown]
	v_add_f32_e32 v21, v166, v21
	v_mul_f32_e32 v166, 0xbf763a35, v72
	v_fmamk_f32 v75, v113, 0x3f763a35, v227
	v_mul_f32_e32 v230, 0xbf7ee86f, v74
	v_mul_f32_e32 v231, 0xbf763a35, v71
	;; [unrolled: 1-line block ×3, first 2 shown]
	v_fmamk_f32 v167, v65, 0xbe8c1d8e, v166
	v_mul_f32_e32 v233, 0xbf06c442, v72
	v_mul_f32_e32 v234, 0xbf7ba420, v70
	;; [unrolled: 1-line block ×3, first 2 shown]
	v_fmac_f32_e32 v157, 0x3eb8f4ab, v115
	v_add_f32_e32 v167, v167, v21
	v_fmamk_f32 v21, v22, 0xbf7ee86f, v168
	v_fmamk_f32 v70, v22, 0x3e3c28d5, v234
	v_fmac_f32_e32 v131, 0xbf06c442, v116
	v_fmac_f32_e32 v158, 0x3f2c7751, v117
	;; [unrolled: 1-line block ×3, first 2 shown]
	v_add_f32_e32 v21, v21, v20
	v_fmamk_f32 v20, v23, 0x3dbcf732, v169
	v_fmac_f32_e32 v139, 0x3f65296c, v114
	v_fmac_f32_e32 v163, 0xbf763a35, v64
	v_fmac_f32_e32 v168, 0x3f7ee86f, v22
	v_fmac_f32_e32 v146, 0x3f763a35, v115
	v_add_f32_e32 v20, v20, v167
	v_mul_f32_e32 v167, 0xbeb8f4ab, v124
	v_fmac_f32_e32 v147, 0xbeb8f4ab, v116
	v_fmac_f32_e32 v148, 0xbf06c442, v117
	;; [unrolled: 1-line block ×4, first 2 shown]
	v_fmamk_f32 v76, v67, 0x3f6eb680, v167
	v_fmac_f32_e32 v140, 0xbe3c28d5, v64
	v_fma_f32 v121, 0x3f3d2fb0, v67, -v182
	v_fma_f32 v122, 0xbf1a4643, v23, -v188
	;; [unrolled: 1-line block ×3, first 2 shown]
	v_add_f32_e32 v63, v76, v63
	v_fmamk_f32 v76, v68, 0xbf59a7d5, v170
	v_fmac_f32_e32 v227, 0xbf763a35, v113
	v_fmac_f32_e32 v234, 0xbe3c28d5, v22
	v_add_f32_e32 v63, v76, v63
	v_fmamk_f32 v76, v69, 0x3dbcf732, v171
	v_add_f32_e32 v63, v76, v63
	v_fmamk_f32 v76, v66, 0x3f3d2fb0, v172
	;; [unrolled: 2-line block ×4, first 2 shown]
	v_fmac_f32_e32 v174, 0x3f65296c, v22
	v_add_f32_e32 v63, v63, v62
	v_fmamk_f32 v62, v23, 0x3ee437d1, v175
	v_add_f32_e32 v62, v62, v76
	v_fmamk_f32 v76, v115, 0xbf06c442, v176
	v_fmac_f32_e32 v176, 0x3f06c442, v115
	v_add_f32_e32 v76, v76, v77
	v_fmamk_f32 v77, v116, 0xbf2c7751, v177
	v_fmac_f32_e32 v177, 0x3f2c7751, v116
	;; [unrolled: 3-line block ×5, first 2 shown]
	v_add_f32_e32 v76, v77, v76
	v_fmamk_f32 v77, v118, 0xbf59a7d5, v181
	v_add_f32_e32 v77, v77, v141
	v_mul_f32_e32 v141, 0x3f6eb680, v125
	v_fmamk_f32 v78, v64, 0x3eb8f4ab, v141
	v_fmac_f32_e32 v141, 0xbeb8f4ab, v64
	v_add_f32_e32 v76, v78, v76
	v_fmamk_f32 v78, v67, 0x3f3d2fb0, v182
	v_add_f32_e32 v77, v78, v77
	v_fmamk_f32 v78, v68, 0x3ee437d1, v183
	;; [unrolled: 2-line block ×6, first 2 shown]
	v_fmac_f32_e32 v187, 0xbf4c4adb, v22
	v_add_f32_e32 v77, v77, v76
	v_fmamk_f32 v76, v23, 0xbf1a4643, v188
	v_add_f32_e32 v76, v76, v78
	v_fmamk_f32 v78, v115, 0x3e3c28d5, v189
	v_fmac_f32_e32 v189, 0xbe3c28d5, v115
	v_add_f32_e32 v78, v78, v149
	v_mul_f32_e32 v149, 0xbe8c1d8e, v120
	v_fmamk_f32 v79, v116, 0xbf763a35, v149
	v_fmac_f32_e32 v149, 0x3f763a35, v116
	v_add_f32_e32 v78, v79, v78
	v_fmamk_f32 v79, v117, 0xbeb8f4ab, v190
	v_fmac_f32_e32 v190, 0x3eb8f4ab, v117
	v_add_f32_e32 v78, v79, v78
	;; [unrolled: 3-line block ×4, first 2 shown]
	v_fmamk_f32 v79, v118, 0xbf7ba420, v193
	v_add_f32_e32 v79, v79, v142
	v_mul_f32_e32 v142, 0xbf1a4643, v125
	v_fmamk_f32 v81, v64, 0xbf4c4adb, v142
	v_fmac_f32_e32 v142, 0x3f4c4adb, v64
	v_add_f32_e32 v78, v81, v78
	v_fmamk_f32 v81, v67, 0xbe8c1d8e, v194
	v_add_f32_e32 v79, v81, v79
	v_fmamk_f32 v81, v68, 0x3f6eb680, v195
	;; [unrolled: 2-line block ×6, first 2 shown]
	v_fmac_f32_e32 v199, 0x3f2c7751, v22
	v_add_f32_e32 v79, v79, v78
	v_fmamk_f32 v78, v23, 0x3f3d2fb0, v200
	v_add_f32_e32 v78, v78, v81
	v_fmamk_f32 v81, v115, 0x3f4c4adb, v201
	v_fmac_f32_e32 v201, 0xbf4c4adb, v115
	v_add_f32_e32 v81, v81, v150
	v_mul_f32_e32 v150, 0xbf7ba420, v120
	v_fmamk_f32 v82, v116, 0xbe3c28d5, v150
	v_fmac_f32_e32 v150, 0x3e3c28d5, v116
	v_add_f32_e32 v81, v82, v81
	v_fmamk_f32 v82, v117, 0xbf763a35, v202
	v_fmac_f32_e32 v202, 0x3f763a35, v117
	v_add_f32_e32 v81, v82, v81
	;; [unrolled: 3-line block ×4, first 2 shown]
	v_fmamk_f32 v82, v118, 0xbf1a4643, v205
	v_add_f32_e32 v82, v82, v143
	v_mul_f32_e32 v143, 0x3dbcf732, v125
	v_fmamk_f32 v126, v64, 0x3f7ee86f, v143
	v_fmac_f32_e32 v143, 0xbf7ee86f, v64
	v_add_f32_e32 v81, v126, v81
	v_fmamk_f32 v126, v67, 0xbf7ba420, v206
	v_add_f32_e32 v82, v126, v82
	v_fmamk_f32 v126, v68, 0xbe8c1d8e, v207
	;; [unrolled: 2-line block ×6, first 2 shown]
	v_fmac_f32_e32 v211, 0xbf06c442, v22
	v_add_f32_e32 v82, v82, v81
	v_fmamk_f32 v81, v23, 0xbf59a7d5, v212
	v_add_f32_e32 v81, v81, v126
	v_fmamk_f32 v126, v115, 0x3f7ee86f, v213
	v_fmac_f32_e32 v213, 0xbf7ee86f, v115
	v_add_f32_e32 v126, v126, v132
	v_mul_f32_e32 v132, 0xbf1a4643, v120
	v_add_f32_e32 v59, v213, v59
	v_fmamk_f32 v127, v116, 0x3f4c4adb, v132
	v_fmac_f32_e32 v132, 0xbf4c4adb, v116
	v_add_f32_e32 v126, v127, v126
	v_fmamk_f32 v127, v117, 0x3e3c28d5, v214
	v_add_f32_e32 v59, v132, v59
	v_fmac_f32_e32 v214, 0xbe3c28d5, v117
	v_add_f32_e32 v126, v127, v126
	v_fmamk_f32 v127, v113, 0xbf06c442, v215
	v_add_f32_e32 v59, v214, v59
	;; [unrolled: 4-line block ×4, first 2 shown]
	v_add_f32_e32 v127, v127, v144
	v_mul_f32_e32 v144, 0x3ee437d1, v125
	v_mul_f32_e32 v125, 0xbf59a7d5, v125
	v_fmamk_f32 v218, v64, 0xbf65296c, v144
	v_fmac_f32_e32 v144, 0x3f65296c, v64
	v_add_f32_e32 v126, v218, v126
	v_mul_f32_e32 v218, 0xbf4c4adb, v124
	v_add_f32_e32 v59, v144, v59
	v_fmamk_f32 v219, v67, 0xbf1a4643, v218
	v_add_f32_e32 v127, v219, v127
	v_mul_f32_e32 v219, 0xbe3c28d5, v74
	v_fmamk_f32 v74, v68, 0x3dbcf732, v230
	v_fmamk_f32 v220, v68, 0xbf7ba420, v219
	v_add_f32_e32 v127, v220, v127
	v_mul_f32_e32 v220, 0x3f06c442, v71
	v_fmamk_f32 v71, v69, 0xbe8c1d8e, v231
	v_fmamk_f32 v221, v69, 0xbf59a7d5, v220
	v_add_f32_e32 v127, v221, v127
	v_mul_f32_e32 v221, 0x3f763a35, v73
	v_fmamk_f32 v73, v66, 0xbf1a4643, v232
	v_fmamk_f32 v222, v66, 0xbe8c1d8e, v221
	v_add_f32_e32 v127, v222, v127
	v_mul_f32_e32 v222, 0x3f65296c, v72
	v_fmamk_f32 v72, v65, 0xbf59a7d5, v233
	v_fmamk_f32 v223, v65, 0x3ee437d1, v222
	v_add_f32_e32 v223, v223, v127
	v_fmamk_f32 v127, v22, 0xbeb8f4ab, v224
	v_fmac_f32_e32 v224, 0x3eb8f4ab, v22
	v_add_f32_e32 v127, v127, v126
	v_fmamk_f32 v126, v23, 0x3f6eb680, v225
	v_add_f32_e32 v126, v126, v223
	v_mul_f32_e32 v223, 0x3f3d2fb0, v119
	v_fmamk_f32 v119, v115, 0x3f2c7751, v223
	v_fmac_f32_e32 v223, 0xbf2c7751, v115
	v_fma_f32 v115, 0x3f3d2fb0, v118, -v229
	v_add_f32_e32 v119, v119, v151
	v_mul_f32_e32 v151, 0x3ee437d1, v120
	v_add_f32_e32 v57, v223, v57
	v_add_f32_e32 v56, v115, v56
	v_fma_f32 v115, 0xbf7ba420, v68, -v219
	v_fmamk_f32 v120, v116, 0x3f65296c, v151
	v_fmac_f32_e32 v151, 0xbf65296c, v116
	v_add_f32_e32 v119, v120, v119
	v_fmamk_f32 v120, v117, 0x3f7ee86f, v226
	v_add_f32_e32 v57, v151, v57
	v_fmac_f32_e32 v226, 0xbf7ee86f, v117
	v_add_f32_e32 v119, v120, v119
	v_fmamk_f32 v120, v64, 0x3f06c442, v125
	v_add_f32_e32 v57, v226, v57
	v_fmac_f32_e32 v125, 0xbf06c442, v64
	v_fma_f32 v64, 0xbf59a7d5, v65, -v233
	v_add_f32_e32 v75, v75, v119
	v_fmamk_f32 v119, v114, 0x3f4c4adb, v228
	v_add_f32_e32 v57, v227, v57
	v_fmac_f32_e32 v228, 0xbf4c4adb, v114
	v_add_f32_e32 v75, v119, v75
	v_fmamk_f32 v119, v118, 0x3f3d2fb0, v229
	v_add_f32_e32 v57, v228, v57
	v_add_f32_e32 v75, v120, v75
	;; [unrolled: 1-line block ×3, first 2 shown]
	v_mul_f32_e32 v145, 0xbf65296c, v124
	v_fma_f32 v124, 0x3f3d2fb0, v23, -v200
	v_add_f32_e32 v57, v125, v57
	v_fmamk_f32 v120, v67, 0x3ee437d1, v145
	v_add_f32_e32 v57, v234, v57
	v_add_f32_e32 v119, v120, v119
	v_fma_f32 v120, 0x3ee437d1, v23, -v175
	v_add_f32_e32 v74, v74, v119
	v_fma_f32 v119, 0x3f6eb680, v67, -v167
	;; [unrolled: 2-line block ×4, first 2 shown]
	v_add_f32_e32 v72, v72, v71
	v_add_f32_e32 v71, v70, v75
	v_fmamk_f32 v70, v23, 0xbf7ba420, v138
	v_add_f32_e32 v73, v73, v133
	v_fma_f32 v75, 0x3dbcf732, v23, -v169
	v_add_f32_e32 v70, v70, v72
	v_add_f32_e32 v72, v157, v128
	;; [unrolled: 1-line block ×3, first 2 shown]
	v_fma_f32 v74, 0x3f3d2fb0, v68, -v162
	v_fma_f32 v128, 0xbf7ba420, v67, -v206
	v_add_f32_e32 v72, v131, v72
	v_add_f32_e32 v73, v74, v73
	v_fma_f32 v74, 0xbf1a4643, v69, -v164
	v_add_f32_e32 v72, v158, v72
	v_add_f32_e32 v73, v74, v73
	;; [unrolled: 3-line block ×3, first 2 shown]
	v_add_f32_e32 v72, v139, v72
	v_fma_f32 v74, 0xbe8c1d8e, v65, -v166
	v_add_f32_e32 v72, v163, v72
	v_add_f32_e32 v74, v74, v73
	;; [unrolled: 1-line block ×4, first 2 shown]
	v_fma_f32 v75, 0xbe8c1d8e, v118, -v156
	v_add_f32_e32 v74, v146, v129
	v_fma_f32 v129, 0xbf59a7d5, v23, -v212
	v_add_f32_e32 v75, v75, v134
	v_add_f32_e32 v74, v147, v74
	v_add_f32_e32 v75, v119, v75
	v_fma_f32 v119, 0xbf59a7d5, v68, -v170
	v_add_f32_e32 v74, v148, v74
	v_add_f32_e32 v75, v119, v75
	v_fma_f32 v119, 0x3dbcf732, v69, -v171
	v_add_f32_e32 v74, v154, v74
	v_add_f32_e32 v75, v119, v75
	v_fma_f32 v119, 0x3f3d2fb0, v66, -v172
	v_add_f32_e32 v74, v155, v74
	v_add_f32_e32 v75, v119, v75
	v_fma_f32 v119, 0xbf7ba420, v65, -v173
	v_add_f32_e32 v74, v140, v74
	v_add_f32_e32 v119, v119, v75
	v_add_f32_e32 v75, v174, v74
	v_add_f32_e32 v74, v120, v119
	v_fma_f32 v120, 0xbf59a7d5, v118, -v181
	v_add_f32_e32 v119, v176, v152
	v_add_f32_e32 v120, v120, v135
	v_add_f32_e32 v119, v177, v119
	v_add_f32_e32 v120, v121, v120
	v_fma_f32 v121, 0x3ee437d1, v68, -v183
	v_add_f32_e32 v119, v178, v119
	v_add_f32_e32 v120, v121, v120
	v_fma_f32 v121, 0xbf7ba420, v69, -v184
	v_add_f32_e32 v119, v179, v119
	v_add_f32_e32 v120, v121, v120
	v_fma_f32 v121, 0x3dbcf732, v66, -v185
	v_add_f32_e32 v119, v180, v119
	v_add_f32_e32 v120, v121, v120
	v_fma_f32 v121, 0x3f6eb680, v65, -v186
	v_add_f32_e32 v119, v141, v119
	v_add_f32_e32 v121, v121, v120
	v_add_f32_e32 v120, v187, v119
	v_add_f32_e32 v119, v122, v121
	v_fma_f32 v122, 0xbf7ba420, v118, -v193
	v_add_f32_e32 v121, v189, v153
	;; [unrolled: 19-line block ×3, first 2 shown]
	v_add_f32_e32 v124, v124, v137
	v_add_f32_e32 v123, v150, v123
	;; [unrolled: 1-line block ×3, first 2 shown]
	v_fma_f32 v128, 0xbe8c1d8e, v68, -v207
	v_add_f32_e32 v123, v202, v123
	v_add_f32_e32 v124, v128, v124
	v_fma_f32 v128, 0x3f3d2fb0, v69, -v208
	v_add_f32_e32 v123, v203, v123
	v_add_f32_e32 v124, v128, v124
	;; [unrolled: 3-line block ×4, first 2 shown]
	v_add_f32_e32 v124, v211, v123
	v_add_f32_e32 v123, v129, v128
	v_fma_f32 v128, 0x3dbcf732, v118, -v217
	v_fma_f32 v118, 0xbf1a4643, v67, -v218
	;; [unrolled: 1-line block ×3, first 2 shown]
	v_add_f32_e32 v58, v128, v58
	v_add_f32_e32 v56, v67, v56
	v_fma_f32 v67, 0x3dbcf732, v68, -v230
	v_fma_f32 v68, 0xbe8c1d8e, v66, -v221
	v_add_f32_e32 v58, v118, v58
	v_fma_f32 v66, 0xbf1a4643, v66, -v232
	v_add_f32_e32 v56, v67, v56
	;; [unrolled: 2-line block ×5, first 2 shown]
	v_add_f32_e32 v56, v66, v56
	v_mov_b32_e32 v66, 3
	v_add_f32_e32 v58, v68, v58
	v_fma_f32 v68, 0x3ee437d1, v65, -v222
	v_mul_lo_u16 v65, v98, 17
	v_add_f32_e32 v56, v64, v56
	v_fma_f32 v64, 0xbf7ba420, v23, -v138
	v_add_f32_e32 v23, v224, v59
	v_add_f32_e32 v58, v68, v58
	v_lshlrev_b32_sdwa v65, v66, v65 dst_sel:DWORD dst_unused:UNUSED_PAD src0_sel:DWORD src1_sel:WORD_0
	v_add_f32_e32 v56, v64, v56
	v_add_f32_e32 v22, v67, v58
	ds_write2_b64 v65, v[0:1], v[70:71] offset1:1
	ds_write2_b64 v65, v[126:127], v[81:82] offset0:2 offset1:3
	ds_write2_b64 v65, v[78:79], v[76:77] offset0:4 offset1:5
	;; [unrolled: 1-line block ×7, first 2 shown]
	ds_write_b64 v65, v[56:57] offset:128
.LBB0_13:
	s_or_b32 exec_lo, exec_lo, s0
	v_add_nc_u32_e32 v1, 0x1000, v100
	v_add_nc_u32_e32 v0, 0x2400, v100
	s_waitcnt lgkmcnt(0)
	s_barrier
	buffer_gl0_inv
	ds_read2_b64 v[56:59], v1 offset0:100 offset1:253
	ds_read2_b64 v[60:63], v0 offset0:72 offset1:225
	v_add_nc_u32_e32 v3, 0x1c00, v100
	v_add_nc_u32_e32 v2, 0x2e00, v100
	;; [unrolled: 1-line block ×3, first 2 shown]
	ds_read2_b64 v[64:67], v3 offset0:22 offset1:175
	ds_read2_b64 v[68:71], v100 offset1:153
	ds_read2_b64 v[72:75], v2 offset0:58 offset1:211
	ds_read2_b64 v[76:79], v20 offset0:50 offset1:203
	s_waitcnt lgkmcnt(0)
	s_barrier
	buffer_gl0_inv
	v_mul_f32_e32 v21, v17, v57
	v_mul_f32_e32 v17, v17, v56
	;; [unrolled: 1-line block ×7, first 2 shown]
	v_fmac_f32_e32 v21, v16, v56
	v_fma_f32 v16, v16, v57, -v17
	v_fmac_f32_e32 v22, v18, v60
	v_fma_f32 v17, v18, v61, -v19
	v_mul_f32_e32 v18, v11, v73
	v_mul_f32_e32 v11, v11, v72
	;; [unrolled: 1-line block ×9, first 2 shown]
	v_fmac_f32_e32 v23, v12, v58
	v_fma_f32 v12, v12, v59, -v13
	v_fmac_f32_e32 v81, v14, v62
	v_fmac_f32_e32 v18, v10, v72
	v_fma_f32 v19, v10, v73, -v11
	v_fmac_f32_e32 v56, v4, v66
	v_fma_f32 v58, v4, v67, -v5
	v_add_f32_e32 v4, v21, v22
	v_add_f32_e32 v5, v68, v21
	v_fma_f32 v59, v6, v75, -v7
	v_add_f32_e32 v7, v16, v17
	v_add_f32_e32 v10, v69, v16
	v_fma_f32 v13, v14, v63, -v15
	v_fma_f32 v15, v8, v65, -v9
	v_fmac_f32_e32 v57, v6, v74
	v_fma_f32 v4, -0.5, v4, v68
	v_sub_f32_e32 v9, v16, v17
	v_add_f32_e32 v6, v5, v22
	v_fma_f32 v5, -0.5, v7, v69
	v_sub_f32_e32 v11, v21, v22
	v_add_f32_e32 v7, v10, v17
	v_add_f32_e32 v10, v23, v81
	;; [unrolled: 1-line block ×3, first 2 shown]
	v_fmac_f32_e32 v82, v8, v64
	v_fmamk_f32 v8, v9, 0xbf5db3d7, v4
	v_fmac_f32_e32 v4, 0x3f5db3d7, v9
	v_fmamk_f32 v9, v11, 0x3f5db3d7, v5
	v_fmac_f32_e32 v5, 0xbf5db3d7, v11
	v_add_f32_e32 v11, v12, v13
	v_fma_f32 v70, -0.5, v10, v70
	v_add_f32_e32 v10, v14, v81
	v_add_f32_e32 v14, v71, v12
	v_sub_f32_e32 v16, v12, v13
	v_fmac_f32_e32 v71, -0.5, v11
	v_sub_f32_e32 v17, v23, v81
	v_sub_f32_e32 v21, v15, v19
	v_add_f32_e32 v11, v14, v13
	v_add_f32_e32 v14, v82, v18
	v_fmamk_f32 v12, v16, 0xbf5db3d7, v70
	v_fmac_f32_e32 v70, 0x3f5db3d7, v16
	v_fmamk_f32 v13, v17, 0x3f5db3d7, v71
	v_add_f32_e32 v16, v76, v82
	v_fmac_f32_e32 v71, 0xbf5db3d7, v17
	v_add_f32_e32 v17, v15, v19
	v_fma_f32 v14, -0.5, v14, v76
	v_add_f32_e32 v22, v77, v15
	v_add_f32_e32 v16, v16, v18
	v_sub_f32_e32 v23, v82, v18
	v_fma_f32 v15, -0.5, v17, v77
	v_fmamk_f32 v18, v21, 0xbf5db3d7, v14
	v_fmac_f32_e32 v14, 0x3f5db3d7, v21
	v_add_f32_e32 v17, v22, v19
	v_add_f32_e32 v21, v56, v57
	;; [unrolled: 1-line block ×3, first 2 shown]
	v_fmamk_f32 v19, v23, 0x3f5db3d7, v15
	v_fmac_f32_e32 v15, 0xbf5db3d7, v23
	v_add_f32_e32 v23, v78, v56
	v_fma_f32 v78, -0.5, v21, v78
	v_sub_f32_e32 v60, v58, v59
	v_add_f32_e32 v58, v79, v58
	v_fmac_f32_e32 v79, -0.5, v22
	v_sub_f32_e32 v61, v56, v57
	v_add_f32_e32 v21, v23, v57
	v_fmamk_f32 v56, v60, 0xbf5db3d7, v78
	v_fmac_f32_e32 v78, 0x3f5db3d7, v60
	v_add_f32_e32 v22, v58, v59
	v_fmamk_f32 v57, v61, 0x3f5db3d7, v79
	v_fmac_f32_e32 v79, 0xbf5db3d7, v61
	ds_write2_b64 v105, v[6:7], v[8:9] offset1:17
	ds_write_b64 v105, v[4:5] offset:272
	ds_write2_b64 v104, v[10:11], v[12:13] offset1:17
	ds_write_b64 v104, v[70:71] offset:272
	;; [unrolled: 2-line block ×4, first 2 shown]
	s_waitcnt lgkmcnt(0)
	s_barrier
	buffer_gl0_inv
	ds_read2_b64 v[4:7], v1 offset0:100 offset1:253
	ds_read2_b64 v[8:11], v0 offset0:72 offset1:225
	;; [unrolled: 1-line block ×4, first 2 shown]
	ds_read2_b64 v[56:59], v100 offset1:153
	ds_read2_b64 v[60:63], v20 offset0:50 offset1:203
	s_waitcnt lgkmcnt(0)
	s_barrier
	buffer_gl0_inv
	v_mul_f32_e32 v21, v37, v5
	v_mul_f32_e32 v22, v37, v4
	;; [unrolled: 1-line block ×3, first 2 shown]
	v_fmac_f32_e32 v21, v36, v4
	v_mul_f32_e32 v4, v39, v8
	v_fma_f32 v5, v36, v5, -v22
	v_mul_f32_e32 v22, v33, v7
	v_fmac_f32_e32 v23, v38, v8
	v_mul_f32_e32 v8, v33, v6
	v_fma_f32 v9, v38, v9, -v4
	v_mul_f32_e32 v33, v35, v11
	v_fmac_f32_e32 v22, v32, v6
	v_mul_f32_e32 v4, v35, v10
	v_mul_f32_e32 v35, v29, v13
	;; [unrolled: 1-line block ×4, first 2 shown]
	v_fma_f32 v32, v32, v7, -v8
	v_fma_f32 v11, v34, v11, -v4
	v_fmac_f32_e32 v35, v28, v12
	v_mul_f32_e32 v4, v31, v16
	v_fma_f32 v28, v28, v13, -v6
	v_mul_f32_e32 v31, v25, v15
	v_mul_f32_e32 v6, v25, v14
	;; [unrolled: 1-line block ×3, first 2 shown]
	v_fma_f32 v17, v30, v17, -v4
	v_mul_f32_e32 v4, v27, v18
	v_fmac_f32_e32 v31, v24, v14
	v_fma_f32 v24, v24, v15, -v6
	v_add_f32_e32 v6, v21, v23
	v_add_f32_e32 v7, v56, v21
	;; [unrolled: 1-line block ×3, first 2 shown]
	v_fmac_f32_e32 v33, v34, v10
	v_fmac_f32_e32 v25, v26, v18
	v_fma_f32 v26, v26, v19, -v4
	v_fma_f32 v4, -0.5, v6, v56
	v_sub_f32_e32 v10, v5, v9
	v_add_f32_e32 v6, v7, v23
	v_add_f32_e32 v7, v57, v5
	v_fma_f32 v5, -0.5, v8, v57
	v_sub_f32_e32 v12, v21, v23
	v_fmamk_f32 v8, v10, 0xbf5db3d7, v4
	v_fmac_f32_e32 v4, 0x3f5db3d7, v10
	v_add_f32_e32 v7, v7, v9
	v_add_f32_e32 v10, v22, v33
	v_fmamk_f32 v9, v12, 0x3f5db3d7, v5
	v_add_f32_e32 v13, v58, v22
	v_fmac_f32_e32 v5, 0xbf5db3d7, v12
	v_add_f32_e32 v12, v32, v11
	v_fmac_f32_e32 v29, v30, v16
	v_fma_f32 v58, -0.5, v10, v58
	v_sub_f32_e32 v14, v32, v11
	v_add_f32_e32 v10, v13, v33
	v_add_f32_e32 v13, v59, v32
	v_fmac_f32_e32 v59, -0.5, v12
	v_sub_f32_e32 v15, v22, v33
	v_fmamk_f32 v12, v14, 0xbf5db3d7, v58
	v_fmac_f32_e32 v58, 0x3f5db3d7, v14
	v_add_f32_e32 v11, v13, v11
	v_add_f32_e32 v14, v35, v29
	v_fmamk_f32 v13, v15, 0x3f5db3d7, v59
	v_fmac_f32_e32 v59, 0xbf5db3d7, v15
	v_add_f32_e32 v15, v28, v17
	v_sub_f32_e32 v19, v28, v17
	v_fma_f32 v14, -0.5, v14, v60
	v_add_f32_e32 v21, v61, v28
	v_sub_f32_e32 v22, v35, v29
	v_fma_f32 v15, -0.5, v15, v61
	v_add_f32_e32 v16, v60, v35
	v_fmamk_f32 v18, v19, 0xbf5db3d7, v14
	v_fmac_f32_e32 v14, 0x3f5db3d7, v19
	v_add_f32_e32 v17, v21, v17
	v_add_f32_e32 v21, v31, v25
	v_fmamk_f32 v19, v22, 0x3f5db3d7, v15
	v_fmac_f32_e32 v15, 0xbf5db3d7, v22
	v_add_f32_e32 v22, v24, v26
	v_add_f32_e32 v23, v62, v31
	v_fma_f32 v62, -0.5, v21, v62
	v_sub_f32_e32 v27, v24, v26
	v_add_f32_e32 v24, v63, v24
	v_fmac_f32_e32 v63, -0.5, v22
	v_sub_f32_e32 v28, v31, v25
	v_add_f32_e32 v16, v16, v29
	v_add_f32_e32 v21, v23, v25
	v_fmamk_f32 v23, v27, 0xbf5db3d7, v62
	v_add_f32_e32 v22, v24, v26
	v_fmamk_f32 v24, v28, 0x3f5db3d7, v63
	v_fmac_f32_e32 v62, 0x3f5db3d7, v27
	v_fmac_f32_e32 v63, 0xbf5db3d7, v28
	ds_write2_b64 v112, v[6:7], v[8:9] offset1:51
	ds_write_b64 v112, v[4:5] offset:816
	ds_write2_b64 v111, v[10:11], v[12:13] offset1:51
	ds_write_b64 v111, v[58:59] offset:816
	;; [unrolled: 2-line block ×4, first 2 shown]
	s_waitcnt lgkmcnt(0)
	s_barrier
	buffer_gl0_inv
	ds_read2_b64 v[4:7], v3 offset0:22 offset1:175
	ds_read2_b64 v[8:11], v0 offset0:72 offset1:225
	;; [unrolled: 1-line block ×3, first 2 shown]
	ds_read2_b64 v[16:19], v100 offset1:153
	ds_read2_b64 v[21:24], v20 offset0:50 offset1:203
	ds_read2_b64 v[25:28], v1 offset0:100 offset1:253
	s_waitcnt lgkmcnt(0)
	s_barrier
	buffer_gl0_inv
	v_mul_f32_e32 v29, v92, v5
	v_mul_f32_e32 v30, v92, v4
	;; [unrolled: 1-line block ×5, first 2 shown]
	v_fmac_f32_e32 v29, v91, v4
	v_fma_f32 v5, v91, v5, -v30
	v_fmac_f32_e32 v31, v91, v6
	v_mul_f32_e32 v30, v88, v9
	v_mul_f32_e32 v4, v88, v8
	;; [unrolled: 1-line block ×4, first 2 shown]
	v_fma_f32 v32, v91, v7, -v32
	v_fmac_f32_e32 v30, v87, v8
	v_fma_f32 v35, v87, v9, -v4
	v_fma_f32 v36, v89, v11, -v6
	v_mul_f32_e32 v6, v86, v12
	v_mul_f32_e32 v37, v84, v15
	;; [unrolled: 1-line block ×3, first 2 shown]
	v_sub_f32_e32 v4, v16, v29
	v_sub_f32_e32 v5, v17, v5
	v_fmac_f32_e32 v33, v89, v10
	v_fmac_f32_e32 v34, v85, v12
	v_fma_f32 v29, v85, v13, -v6
	v_sub_f32_e32 v10, v21, v30
	v_sub_f32_e32 v11, v22, v35
	v_fmac_f32_e32 v37, v83, v14
	v_fma_f32 v38, v83, v15, -v7
	v_sub_f32_e32 v8, v18, v31
	v_sub_f32_e32 v9, v19, v32
	v_fma_f32 v6, v16, 2.0, -v4
	v_fma_f32 v7, v17, 2.0, -v5
	v_sub_f32_e32 v14, v23, v33
	v_sub_f32_e32 v15, v24, v36
	v_fma_f32 v16, v21, 2.0, -v10
	v_fma_f32 v17, v22, 2.0, -v11
	v_sub_f32_e32 v21, v25, v34
	v_sub_f32_e32 v22, v26, v29
	;; [unrolled: 1-line block ×4, first 2 shown]
	v_fma_f32 v12, v18, 2.0, -v8
	v_fma_f32 v13, v19, 2.0, -v9
	ds_write2_b64 v100, v[6:7], v[4:5] offset1:153
	v_add_nc_u32_e32 v4, 0x1000, v101
	v_fma_f32 v18, v23, 2.0, -v14
	v_fma_f32 v19, v24, 2.0, -v15
	v_add_nc_u32_e32 v5, 0x1c00, v108
	v_fma_f32 v23, v25, 2.0, -v21
	v_fma_f32 v24, v26, 2.0, -v22
	;; [unrolled: 3-line block ×3, first 2 shown]
	v_add_nc_u32_e32 v7, 0x2e00, v106
	ds_write2_b64 v20, v[12:13], v[8:9] offset0:50 offset1:203
	ds_write2_b64 v4, v[16:17], v[10:11] offset0:100 offset1:253
	ds_write2_b64 v5, v[18:19], v[14:15] offset0:22 offset1:175
	ds_write2_b64 v6, v[23:24], v[21:22] offset0:72 offset1:225
	ds_write2_b64 v7, v[25:26], v[29:30] offset0:58 offset1:211
	s_waitcnt lgkmcnt(0)
	s_barrier
	buffer_gl0_inv
	ds_read2_b64 v[4:7], v20 offset0:50 offset1:203
	ds_read2_b64 v[8:11], v1 offset0:100 offset1:253
	;; [unrolled: 1-line block ×5, first 2 shown]
	ds_read2_b64 v[25:28], v100 offset1:153
	s_waitcnt lgkmcnt(5)
	v_mul_f32_e32 v30, v49, v4
	v_mul_f32_e32 v29, v49, v5
	s_waitcnt lgkmcnt(4)
	v_mul_f32_e32 v31, v51, v9
	s_waitcnt lgkmcnt(2)
	v_mul_f32_e32 v34, v47, v19
	v_mul_f32_e32 v32, v45, v15
	v_fma_f32 v5, v48, v5, -v30
	v_mul_f32_e32 v30, v41, v13
	v_fmac_f32_e32 v29, v48, v4
	v_mul_f32_e32 v4, v51, v8
	v_fmac_f32_e32 v31, v50, v8
	;; [unrolled: 2-line block ×3, first 2 shown]
	v_mul_f32_e32 v12, v43, v16
	v_fma_f32 v4, v50, v9, -v4
	v_mul_f32_e32 v9, v43, v17
	v_fma_f32 v8, v40, v13, -v8
	s_waitcnt lgkmcnt(1)
	v_mul_f32_e32 v13, v94, v22
	v_fma_f32 v12, v42, v17, -v12
	v_mul_f32_e32 v17, v53, v7
	v_fmac_f32_e32 v9, v42, v16
	v_mul_f32_e32 v16, v94, v21
	v_fmac_f32_e32 v13, v93, v21
	;; [unrolled: 2-line block ×4, first 2 shown]
	v_fma_f32 v16, v93, v22, -v16
	v_fma_f32 v21, v52, v7, -v21
	v_mul_f32_e32 v7, v45, v14
	v_fma_f32 v33, v54, v11, -v6
	v_mul_f32_e32 v6, v47, v18
	v_mul_f32_e32 v22, v55, v11
	v_fmac_f32_e32 v32, v44, v14
	v_fma_f32 v35, v44, v15, -v7
	v_mul_f32_e32 v7, v96, v23
	v_fma_f32 v18, v46, v19, -v6
	v_add_f32_e32 v6, v31, v9
	v_fmac_f32_e32 v22, v54, v10
	v_mul_f32_e32 v36, v96, v24
	s_waitcnt lgkmcnt(0)
	v_add_f32_e32 v10, v25, v31
	v_fma_f32 v19, v95, v24, -v7
	v_fma_f32 v11, -0.5, v6, v25
	v_sub_f32_e32 v6, v4, v12
	v_add_f32_e32 v7, v4, v12
	v_add_f32_e32 v4, v26, v4
	v_fmac_f32_e32 v36, v95, v23
	v_add_f32_e32 v10, v10, v9
	v_fmamk_f32 v14, v6, 0xbf5db3d7, v11
	v_fmac_f32_e32 v11, 0x3f5db3d7, v6
	v_add_f32_e32 v6, v8, v16
	v_fma_f32 v15, -0.5, v7, v26
	v_sub_f32_e32 v7, v31, v9
	v_add_f32_e32 v23, v4, v12
	v_add_f32_e32 v4, v30, v13
	;; [unrolled: 1-line block ×3, first 2 shown]
	v_fmac_f32_e32 v5, -0.5, v6
	v_sub_f32_e32 v6, v30, v13
	v_fmamk_f32 v24, v7, 0x3f5db3d7, v15
	v_add_f32_e32 v12, v29, v30
	v_fmac_f32_e32 v29, -0.5, v4
	v_sub_f32_e32 v4, v8, v16
	v_fmac_f32_e32 v15, 0xbf5db3d7, v7
	v_fmamk_f32 v7, v6, 0x3f5db3d7, v5
	v_fmac_f32_e32 v5, 0xbf5db3d7, v6
	v_add_f32_e32 v12, v12, v13
	v_fmamk_f32 v6, v4, 0xbf5db3d7, v29
	v_fmac_f32_e32 v29, 0x3f5db3d7, v4
	v_mul_f32_e32 v13, 0xbf5db3d7, v7
	v_mul_f32_e32 v25, 0xbf5db3d7, v5
	v_add_f32_e32 v16, v9, v16
	v_mul_f32_e32 v26, 0.5, v7
	v_mul_f32_e32 v30, -0.5, v5
	v_fmac_f32_e32 v13, 0.5, v6
	v_fmac_f32_e32 v25, -0.5, v29
	v_add_f32_e32 v4, v10, v12
	v_fmac_f32_e32 v26, 0x3f5db3d7, v6
	v_add_f32_e32 v5, v23, v16
	v_add_f32_e32 v6, v14, v13
	;; [unrolled: 1-line block ×3, first 2 shown]
	v_sub_f32_e32 v10, v10, v12
	v_sub_f32_e32 v12, v14, v13
	;; [unrolled: 1-line block ×4, first 2 shown]
	v_add_f32_e32 v16, v22, v34
	v_add_f32_e32 v7, v24, v26
	v_sub_f32_e32 v13, v24, v26
	v_add_f32_e32 v24, v33, v18
	v_add_f32_e32 v25, v28, v33
	v_fma_f32 v26, -0.5, v16, v27
	v_sub_f32_e32 v16, v33, v18
	v_fmac_f32_e32 v30, 0x3f5db3d7, v29
	v_fmac_f32_e32 v28, -0.5, v24
	v_add_f32_e32 v23, v27, v22
	v_sub_f32_e32 v22, v22, v34
	v_fmamk_f32 v24, v16, 0xbf5db3d7, v26
	v_fmac_f32_e32 v26, 0x3f5db3d7, v16
	v_add_f32_e32 v16, v35, v19
	v_add_f32_e32 v29, v25, v18
	;; [unrolled: 1-line block ×5, first 2 shown]
	v_fmac_f32_e32 v21, -0.5, v16
	v_sub_f32_e32 v16, v32, v36
	v_sub_f32_e32 v15, v15, v30
	v_fmamk_f32 v30, v22, 0x3f5db3d7, v28
	v_add_f32_e32 v27, v17, v32
	v_fmac_f32_e32 v17, -0.5, v18
	v_sub_f32_e32 v18, v35, v19
	v_fmac_f32_e32 v28, 0xbf5db3d7, v22
	v_fmamk_f32 v22, v16, 0x3f5db3d7, v21
	v_fmac_f32_e32 v21, 0xbf5db3d7, v16
	v_add_f32_e32 v27, v27, v36
	v_fmamk_f32 v31, v18, 0xbf5db3d7, v17
	v_fmac_f32_e32 v17, 0x3f5db3d7, v18
	v_mul_f32_e32 v32, 0xbf5db3d7, v22
	v_mul_f32_e32 v35, 0.5, v22
	v_mul_f32_e32 v33, 0xbf5db3d7, v21
	v_mul_f32_e32 v36, -0.5, v21
	v_add_f32_e32 v23, v23, v34
	v_add_f32_e32 v34, v25, v19
	v_fmac_f32_e32 v32, 0.5, v31
	v_fmac_f32_e32 v35, 0x3f5db3d7, v31
	v_fmac_f32_e32 v33, -0.5, v17
	v_fmac_f32_e32 v36, 0x3f5db3d7, v17
	v_add_f32_e32 v16, v23, v27
	v_add_f32_e32 v17, v29, v34
	;; [unrolled: 1-line block ×6, first 2 shown]
	v_sub_f32_e32 v23, v23, v27
	v_sub_f32_e32 v25, v24, v32
	;; [unrolled: 1-line block ×6, first 2 shown]
	ds_write2_b64 v100, v[4:5], v[16:17] offset1:153
	ds_write2_b64 v20, v[6:7], v[18:19] offset0:50 offset1:203
	ds_write2_b64 v1, v[8:9], v[21:22] offset0:100 offset1:253
	;; [unrolled: 1-line block ×5, first 2 shown]
	s_waitcnt lgkmcnt(0)
	s_barrier
	buffer_gl0_inv
	s_and_b32 exec_lo, exec_lo, vcc_lo
	s_cbranch_execz .LBB0_15
; %bb.14:
	global_load_dwordx2 v[0:1], v97, s[12:13]
	ds_read_b64 v[2:3], v100
	s_mov_b32 s0, 0x672e4abd
	s_mov_b32 s1, 0x3f41d8f5
	v_mad_u64_u32 v[6:7], null, s4, v98, 0
	s_mul_i32 s2, s5, 0x360
	s_mul_i32 s3, s4, 0x360
	s_waitcnt vmcnt(0) lgkmcnt(0)
	v_mul_f32_e32 v4, v3, v1
	v_mul_f32_e32 v1, v2, v1
	v_fmac_f32_e32 v4, v2, v0
	v_fma_f32 v2, v0, v3, -v1
	v_cvt_f64_f32_e32 v[0:1], v4
	v_cvt_f64_f32_e32 v[2:3], v2
	v_mad_u64_u32 v[4:5], null, s6, v80, 0
	v_mad_u64_u32 v[8:9], null, s7, v80, v[5:6]
	;; [unrolled: 1-line block ×3, first 2 shown]
	v_mov_b32_e32 v5, v8
	s_mul_hi_u32 s5, s4, 0x360
	v_mul_f64 v[0:1], v[0:1], s[0:1]
	v_mul_f64 v[2:3], v[2:3], s[0:1]
	s_add_i32 s2, s5, s2
	v_add_co_u32 v10, s4, s12, v97
	v_mov_b32_e32 v7, v9
	v_add_co_ci_u32_e64 v11, null, s13, 0, s4
	v_cvt_f32_f64_e32 v0, v[0:1]
	v_cvt_f32_f64_e32 v1, v[2:3]
	v_lshlrev_b64 v[2:3], 3, v[4:5]
	v_lshlrev_b64 v[4:5], 3, v[6:7]
	v_add_co_u32 v2, vcc_lo, s14, v2
	v_add_co_ci_u32_e32 v3, vcc_lo, s15, v3, vcc_lo
	v_add_co_u32 v4, vcc_lo, v2, v4
	v_add_co_ci_u32_e32 v5, vcc_lo, v3, v5, vcc_lo
	global_store_dwordx2 v[4:5], v[0:1], off
	global_load_dwordx2 v[6:7], v97, s[12:13] offset:864
	ds_read2_b64 v[0:3], v99 offset0:108 offset1:216
	v_add_co_u32 v4, vcc_lo, v4, s3
	v_add_co_ci_u32_e32 v5, vcc_lo, s2, v5, vcc_lo
	s_waitcnt vmcnt(0) lgkmcnt(0)
	v_mul_f32_e32 v8, v1, v7
	v_mul_f32_e32 v7, v0, v7
	v_fmac_f32_e32 v8, v0, v6
	v_fma_f32 v6, v6, v1, -v7
	v_cvt_f64_f32_e32 v[0:1], v8
	v_cvt_f64_f32_e32 v[6:7], v6
	v_mul_f64 v[0:1], v[0:1], s[0:1]
	v_mul_f64 v[6:7], v[6:7], s[0:1]
	v_cvt_f32_f64_e32 v0, v[0:1]
	v_cvt_f32_f64_e32 v1, v[6:7]
	global_store_dwordx2 v[4:5], v[0:1], off
	global_load_dwordx2 v[0:1], v97, s[12:13] offset:1728
	v_add_co_u32 v4, vcc_lo, v4, s3
	v_add_co_ci_u32_e32 v5, vcc_lo, s2, v5, vcc_lo
	s_waitcnt vmcnt(0)
	v_mul_f32_e32 v6, v3, v1
	v_mul_f32_e32 v1, v2, v1
	v_fmac_f32_e32 v6, v2, v0
	v_fma_f32 v2, v0, v3, -v1
	v_cvt_f64_f32_e32 v[0:1], v6
	v_cvt_f64_f32_e32 v[2:3], v2
	v_add_co_u32 v6, vcc_lo, 0x800, v10
	v_add_co_ci_u32_e32 v7, vcc_lo, 0, v11, vcc_lo
	v_mul_f64 v[0:1], v[0:1], s[0:1]
	v_mul_f64 v[2:3], v[2:3], s[0:1]
	v_cvt_f32_f64_e32 v0, v[0:1]
	v_cvt_f32_f64_e32 v1, v[2:3]
	global_store_dwordx2 v[4:5], v[0:1], off
	global_load_dwordx2 v[8:9], v[6:7], off offset:544
	v_add_nc_u32_e32 v0, 0x800, v99
	v_add_co_u32 v4, vcc_lo, v4, s3
	v_add_co_ci_u32_e32 v5, vcc_lo, s2, v5, vcc_lo
	ds_read2_b64 v[0:3], v0 offset0:68 offset1:176
	s_waitcnt vmcnt(0) lgkmcnt(0)
	v_mul_f32_e32 v12, v1, v9
	v_mul_f32_e32 v9, v0, v9
	v_fmac_f32_e32 v12, v0, v8
	v_fma_f32 v8, v8, v1, -v9
	v_cvt_f64_f32_e32 v[0:1], v12
	v_cvt_f64_f32_e32 v[8:9], v8
	v_mul_f64 v[0:1], v[0:1], s[0:1]
	v_mul_f64 v[8:9], v[8:9], s[0:1]
	v_cvt_f32_f64_e32 v0, v[0:1]
	v_cvt_f32_f64_e32 v1, v[8:9]
	global_store_dwordx2 v[4:5], v[0:1], off
	global_load_dwordx2 v[0:1], v[6:7], off offset:1408
	v_add_co_u32 v4, vcc_lo, v4, s3
	v_add_co_ci_u32_e32 v5, vcc_lo, s2, v5, vcc_lo
	s_waitcnt vmcnt(0)
	v_mul_f32_e32 v6, v3, v1
	v_mul_f32_e32 v1, v2, v1
	v_fmac_f32_e32 v6, v2, v0
	v_fma_f32 v2, v0, v3, -v1
	v_cvt_f64_f32_e32 v[0:1], v6
	v_cvt_f64_f32_e32 v[2:3], v2
	v_add_co_u32 v6, vcc_lo, 0x1000, v10
	v_add_co_ci_u32_e32 v7, vcc_lo, 0, v11, vcc_lo
	v_mul_f64 v[0:1], v[0:1], s[0:1]
	v_mul_f64 v[2:3], v[2:3], s[0:1]
	v_cvt_f32_f64_e32 v0, v[0:1]
	v_cvt_f32_f64_e32 v1, v[2:3]
	global_store_dwordx2 v[4:5], v[0:1], off
	global_load_dwordx2 v[8:9], v[6:7], off offset:224
	v_add_nc_u32_e32 v0, 0x1000, v99
	v_add_co_u32 v4, vcc_lo, v4, s3
	v_add_co_ci_u32_e32 v5, vcc_lo, s2, v5, vcc_lo
	ds_read2_b64 v[0:3], v0 offset0:28 offset1:136
	s_waitcnt vmcnt(0) lgkmcnt(0)
	v_mul_f32_e32 v12, v1, v9
	v_mul_f32_e32 v9, v0, v9
	v_fmac_f32_e32 v12, v0, v8
	v_fma_f32 v8, v8, v1, -v9
	v_cvt_f64_f32_e32 v[0:1], v12
	v_cvt_f64_f32_e32 v[8:9], v8
	v_mul_f64 v[0:1], v[0:1], s[0:1]
	v_mul_f64 v[8:9], v[8:9], s[0:1]
	v_cvt_f32_f64_e32 v0, v[0:1]
	v_cvt_f32_f64_e32 v1, v[8:9]
	global_store_dwordx2 v[4:5], v[0:1], off
	global_load_dwordx2 v[0:1], v[6:7], off offset:1088
	v_add_co_u32 v4, vcc_lo, v4, s3
	v_add_co_ci_u32_e32 v5, vcc_lo, s2, v5, vcc_lo
	s_waitcnt vmcnt(0)
	v_mul_f32_e32 v8, v3, v1
	v_mul_f32_e32 v1, v2, v1
	v_fmac_f32_e32 v8, v2, v0
	v_fma_f32 v2, v0, v3, -v1
	v_cvt_f64_f32_e32 v[0:1], v8
	v_cvt_f64_f32_e32 v[2:3], v2
	v_mul_f64 v[0:1], v[0:1], s[0:1]
	v_mul_f64 v[2:3], v[2:3], s[0:1]
	v_cvt_f32_f64_e32 v0, v[0:1]
	v_cvt_f32_f64_e32 v1, v[2:3]
	global_store_dwordx2 v[4:5], v[0:1], off
	global_load_dwordx2 v[6:7], v[6:7], off offset:1952
	v_add_nc_u32_e32 v0, 0x1400, v99
	v_add_co_u32 v4, vcc_lo, v4, s3
	v_add_co_ci_u32_e32 v5, vcc_lo, s2, v5, vcc_lo
	ds_read2_b64 v[0:3], v0 offset0:116 offset1:224
	s_waitcnt vmcnt(0) lgkmcnt(0)
	v_mul_f32_e32 v8, v1, v7
	v_mul_f32_e32 v7, v0, v7
	v_fmac_f32_e32 v8, v0, v6
	v_fma_f32 v6, v6, v1, -v7
	v_cvt_f64_f32_e32 v[0:1], v8
	v_cvt_f64_f32_e32 v[6:7], v6
	v_mul_f64 v[0:1], v[0:1], s[0:1]
	v_mul_f64 v[6:7], v[6:7], s[0:1]
	v_cvt_f32_f64_e32 v0, v[0:1]
	v_cvt_f32_f64_e32 v1, v[6:7]
	v_add_co_u32 v6, vcc_lo, 0x1800, v10
	v_add_co_ci_u32_e32 v7, vcc_lo, 0, v11, vcc_lo
	global_store_dwordx2 v[4:5], v[0:1], off
	global_load_dwordx2 v[0:1], v[6:7], off offset:768
	v_add_co_u32 v4, vcc_lo, v4, s3
	v_add_co_ci_u32_e32 v5, vcc_lo, s2, v5, vcc_lo
	s_waitcnt vmcnt(0)
	v_mul_f32_e32 v8, v3, v1
	v_mul_f32_e32 v1, v2, v1
	v_fmac_f32_e32 v8, v2, v0
	v_fma_f32 v2, v0, v3, -v1
	v_cvt_f64_f32_e32 v[0:1], v8
	v_cvt_f64_f32_e32 v[2:3], v2
	v_mul_f64 v[0:1], v[0:1], s[0:1]
	v_mul_f64 v[2:3], v[2:3], s[0:1]
	v_cvt_f32_f64_e32 v0, v[0:1]
	v_cvt_f32_f64_e32 v1, v[2:3]
	global_store_dwordx2 v[4:5], v[0:1], off
	global_load_dwordx2 v[6:7], v[6:7], off offset:1632
	v_add_nc_u32_e32 v0, 0x1c00, v99
	v_add_co_u32 v4, vcc_lo, v4, s3
	v_add_co_ci_u32_e32 v5, vcc_lo, s2, v5, vcc_lo
	ds_read2_b64 v[0:3], v0 offset0:76 offset1:184
	s_waitcnt vmcnt(0) lgkmcnt(0)
	v_mul_f32_e32 v8, v1, v7
	v_mul_f32_e32 v7, v0, v7
	v_fmac_f32_e32 v8, v0, v6
	v_fma_f32 v6, v6, v1, -v7
	v_cvt_f64_f32_e32 v[0:1], v8
	v_cvt_f64_f32_e32 v[6:7], v6
	v_mul_f64 v[0:1], v[0:1], s[0:1]
	v_mul_f64 v[6:7], v[6:7], s[0:1]
	v_cvt_f32_f64_e32 v0, v[0:1]
	v_cvt_f32_f64_e32 v1, v[6:7]
	v_add_co_u32 v6, vcc_lo, 0x2000, v10
	v_add_co_ci_u32_e32 v7, vcc_lo, 0, v11, vcc_lo
	;; [unrolled: 34-line block ×3, first 2 shown]
	global_store_dwordx2 v[4:5], v[0:1], off
	global_load_dwordx2 v[0:1], v[6:7], off offset:128
	v_add_co_u32 v4, vcc_lo, v4, s3
	v_add_co_ci_u32_e32 v5, vcc_lo, s2, v5, vcc_lo
	s_waitcnt vmcnt(0)
	v_mul_f32_e32 v8, v3, v1
	v_mul_f32_e32 v1, v2, v1
	v_fmac_f32_e32 v8, v2, v0
	v_fma_f32 v2, v0, v3, -v1
	v_cvt_f64_f32_e32 v[0:1], v8
	v_cvt_f64_f32_e32 v[2:3], v2
	v_mul_f64 v[0:1], v[0:1], s[0:1]
	v_mul_f64 v[2:3], v[2:3], s[0:1]
	v_cvt_f32_f64_e32 v0, v[0:1]
	v_cvt_f32_f64_e32 v1, v[2:3]
	global_store_dwordx2 v[4:5], v[0:1], off
	global_load_dwordx2 v[8:9], v[6:7], off offset:992
	v_add_nc_u32_e32 v0, 0x2800, v99
	v_add_co_u32 v4, vcc_lo, v4, s3
	v_add_co_ci_u32_e32 v5, vcc_lo, s2, v5, vcc_lo
	ds_read2_b64 v[0:3], v0 offset0:124 offset1:232
	s_waitcnt vmcnt(0) lgkmcnt(0)
	v_mul_f32_e32 v12, v1, v9
	v_mul_f32_e32 v9, v0, v9
	v_fmac_f32_e32 v12, v0, v8
	v_fma_f32 v8, v8, v1, -v9
	v_cvt_f64_f32_e32 v[0:1], v12
	v_cvt_f64_f32_e32 v[8:9], v8
	v_mul_f64 v[0:1], v[0:1], s[0:1]
	v_mul_f64 v[8:9], v[8:9], s[0:1]
	v_cvt_f32_f64_e32 v0, v[0:1]
	v_cvt_f32_f64_e32 v1, v[8:9]
	global_store_dwordx2 v[4:5], v[0:1], off
	global_load_dwordx2 v[0:1], v[6:7], off offset:1856
	v_add_co_u32 v4, vcc_lo, v4, s3
	v_add_co_ci_u32_e32 v5, vcc_lo, s2, v5, vcc_lo
	s_waitcnt vmcnt(0)
	v_mul_f32_e32 v6, v3, v1
	v_mul_f32_e32 v1, v2, v1
	v_fmac_f32_e32 v6, v2, v0
	v_fma_f32 v2, v0, v3, -v1
	v_cvt_f64_f32_e32 v[0:1], v6
	v_cvt_f64_f32_e32 v[2:3], v2
	v_add_co_u32 v6, vcc_lo, 0x3000, v10
	v_add_co_ci_u32_e32 v7, vcc_lo, 0, v11, vcc_lo
	v_mul_f64 v[0:1], v[0:1], s[0:1]
	v_mul_f64 v[2:3], v[2:3], s[0:1]
	v_cvt_f32_f64_e32 v0, v[0:1]
	v_cvt_f32_f64_e32 v1, v[2:3]
	global_store_dwordx2 v[4:5], v[0:1], off
	global_load_dwordx2 v[8:9], v[6:7], off offset:672
	v_add_nc_u32_e32 v0, 0x3000, v99
	v_add_co_u32 v4, vcc_lo, v4, s3
	v_add_co_ci_u32_e32 v5, vcc_lo, s2, v5, vcc_lo
	ds_read2_b64 v[0:3], v0 offset0:84 offset1:192
	s_waitcnt vmcnt(0) lgkmcnt(0)
	v_mul_f32_e32 v10, v1, v9
	v_mul_f32_e32 v9, v0, v9
	v_fmac_f32_e32 v10, v0, v8
	v_fma_f32 v8, v8, v1, -v9
	v_cvt_f64_f32_e32 v[0:1], v10
	v_cvt_f64_f32_e32 v[8:9], v8
	v_mul_f64 v[0:1], v[0:1], s[0:1]
	v_mul_f64 v[8:9], v[8:9], s[0:1]
	v_cvt_f32_f64_e32 v0, v[0:1]
	v_cvt_f32_f64_e32 v1, v[8:9]
	global_store_dwordx2 v[4:5], v[0:1], off
	global_load_dwordx2 v[0:1], v[6:7], off offset:1536
	s_waitcnt vmcnt(0)
	v_mul_f32_e32 v6, v3, v1
	v_mul_f32_e32 v1, v2, v1
	v_fmac_f32_e32 v6, v2, v0
	v_fma_f32 v2, v0, v3, -v1
	v_cvt_f64_f32_e32 v[0:1], v6
	v_cvt_f64_f32_e32 v[2:3], v2
	v_mul_f64 v[0:1], v[0:1], s[0:1]
	v_mul_f64 v[2:3], v[2:3], s[0:1]
	v_cvt_f32_f64_e32 v0, v[0:1]
	v_cvt_f32_f64_e32 v1, v[2:3]
	v_add_co_u32 v2, vcc_lo, v4, s3
	v_add_co_ci_u32_e32 v3, vcc_lo, s2, v5, vcc_lo
	global_store_dwordx2 v[2:3], v[0:1], off
.LBB0_15:
	s_endpgm
	.section	.rodata,"a",@progbits
	.p2align	6, 0x0
	.amdhsa_kernel bluestein_single_back_len1836_dim1_sp_op_CI_CI
		.amdhsa_group_segment_fixed_size 14688
		.amdhsa_private_segment_fixed_size 0
		.amdhsa_kernarg_size 104
		.amdhsa_user_sgpr_count 6
		.amdhsa_user_sgpr_private_segment_buffer 1
		.amdhsa_user_sgpr_dispatch_ptr 0
		.amdhsa_user_sgpr_queue_ptr 0
		.amdhsa_user_sgpr_kernarg_segment_ptr 1
		.amdhsa_user_sgpr_dispatch_id 0
		.amdhsa_user_sgpr_flat_scratch_init 0
		.amdhsa_user_sgpr_private_segment_size 0
		.amdhsa_wavefront_size32 1
		.amdhsa_uses_dynamic_stack 0
		.amdhsa_system_sgpr_private_segment_wavefront_offset 0
		.amdhsa_system_sgpr_workgroup_id_x 1
		.amdhsa_system_sgpr_workgroup_id_y 0
		.amdhsa_system_sgpr_workgroup_id_z 0
		.amdhsa_system_sgpr_workgroup_info 0
		.amdhsa_system_vgpr_workitem_id 0
		.amdhsa_next_free_vgpr 235
		.amdhsa_next_free_sgpr 16
		.amdhsa_reserve_vcc 1
		.amdhsa_reserve_flat_scratch 0
		.amdhsa_float_round_mode_32 0
		.amdhsa_float_round_mode_16_64 0
		.amdhsa_float_denorm_mode_32 3
		.amdhsa_float_denorm_mode_16_64 3
		.amdhsa_dx10_clamp 1
		.amdhsa_ieee_mode 1
		.amdhsa_fp16_overflow 0
		.amdhsa_workgroup_processor_mode 1
		.amdhsa_memory_ordered 1
		.amdhsa_forward_progress 0
		.amdhsa_shared_vgpr_count 0
		.amdhsa_exception_fp_ieee_invalid_op 0
		.amdhsa_exception_fp_denorm_src 0
		.amdhsa_exception_fp_ieee_div_zero 0
		.amdhsa_exception_fp_ieee_overflow 0
		.amdhsa_exception_fp_ieee_underflow 0
		.amdhsa_exception_fp_ieee_inexact 0
		.amdhsa_exception_int_div_zero 0
	.end_amdhsa_kernel
	.text
.Lfunc_end0:
	.size	bluestein_single_back_len1836_dim1_sp_op_CI_CI, .Lfunc_end0-bluestein_single_back_len1836_dim1_sp_op_CI_CI
                                        ; -- End function
	.section	.AMDGPU.csdata,"",@progbits
; Kernel info:
; codeLenInByte = 20596
; NumSgprs: 18
; NumVgprs: 235
; ScratchSize: 0
; MemoryBound: 0
; FloatMode: 240
; IeeeMode: 1
; LDSByteSize: 14688 bytes/workgroup (compile time only)
; SGPRBlocks: 2
; VGPRBlocks: 29
; NumSGPRsForWavesPerEU: 18
; NumVGPRsForWavesPerEU: 235
; Occupancy: 4
; WaveLimiterHint : 1
; COMPUTE_PGM_RSRC2:SCRATCH_EN: 0
; COMPUTE_PGM_RSRC2:USER_SGPR: 6
; COMPUTE_PGM_RSRC2:TRAP_HANDLER: 0
; COMPUTE_PGM_RSRC2:TGID_X_EN: 1
; COMPUTE_PGM_RSRC2:TGID_Y_EN: 0
; COMPUTE_PGM_RSRC2:TGID_Z_EN: 0
; COMPUTE_PGM_RSRC2:TIDIG_COMP_CNT: 0
	.text
	.p2alignl 6, 3214868480
	.fill 48, 4, 3214868480
	.type	__hip_cuid_c9afc1672e224c04,@object ; @__hip_cuid_c9afc1672e224c04
	.section	.bss,"aw",@nobits
	.globl	__hip_cuid_c9afc1672e224c04
__hip_cuid_c9afc1672e224c04:
	.byte	0                               ; 0x0
	.size	__hip_cuid_c9afc1672e224c04, 1

	.ident	"AMD clang version 19.0.0git (https://github.com/RadeonOpenCompute/llvm-project roc-6.4.0 25133 c7fe45cf4b819c5991fe208aaa96edf142730f1d)"
	.section	".note.GNU-stack","",@progbits
	.addrsig
	.addrsig_sym __hip_cuid_c9afc1672e224c04
	.amdgpu_metadata
---
amdhsa.kernels:
  - .args:
      - .actual_access:  read_only
        .address_space:  global
        .offset:         0
        .size:           8
        .value_kind:     global_buffer
      - .actual_access:  read_only
        .address_space:  global
        .offset:         8
        .size:           8
        .value_kind:     global_buffer
      - .actual_access:  read_only
        .address_space:  global
        .offset:         16
        .size:           8
        .value_kind:     global_buffer
      - .actual_access:  read_only
        .address_space:  global
        .offset:         24
        .size:           8
        .value_kind:     global_buffer
      - .actual_access:  read_only
        .address_space:  global
        .offset:         32
        .size:           8
        .value_kind:     global_buffer
      - .offset:         40
        .size:           8
        .value_kind:     by_value
      - .address_space:  global
        .offset:         48
        .size:           8
        .value_kind:     global_buffer
      - .address_space:  global
        .offset:         56
        .size:           8
        .value_kind:     global_buffer
      - .address_space:  global
        .offset:         64
        .size:           8
        .value_kind:     global_buffer
      - .address_space:  global
        .offset:         72
        .size:           8
        .value_kind:     global_buffer
      - .offset:         80
        .size:           4
        .value_kind:     by_value
      - .address_space:  global
        .offset:         88
        .size:           8
        .value_kind:     global_buffer
      - .address_space:  global
        .offset:         96
        .size:           8
        .value_kind:     global_buffer
    .group_segment_fixed_size: 14688
    .kernarg_segment_align: 8
    .kernarg_segment_size: 104
    .language:       OpenCL C
    .language_version:
      - 2
      - 0
    .max_flat_workgroup_size: 153
    .name:           bluestein_single_back_len1836_dim1_sp_op_CI_CI
    .private_segment_fixed_size: 0
    .sgpr_count:     18
    .sgpr_spill_count: 0
    .symbol:         bluestein_single_back_len1836_dim1_sp_op_CI_CI.kd
    .uniform_work_group_size: 1
    .uses_dynamic_stack: false
    .vgpr_count:     235
    .vgpr_spill_count: 0
    .wavefront_size: 32
    .workgroup_processor_mode: 1
amdhsa.target:   amdgcn-amd-amdhsa--gfx1030
amdhsa.version:
  - 1
  - 2
...

	.end_amdgpu_metadata
